;; amdgpu-corpus repo=ROCm/rocFFT kind=compiled arch=gfx1201 opt=O3
	.text
	.amdgcn_target "amdgcn-amd-amdhsa--gfx1201"
	.amdhsa_code_object_version 6
	.protected	bluestein_single_fwd_len1950_dim1_dp_op_CI_CI ; -- Begin function bluestein_single_fwd_len1950_dim1_dp_op_CI_CI
	.globl	bluestein_single_fwd_len1950_dim1_dp_op_CI_CI
	.p2align	8
	.type	bluestein_single_fwd_len1950_dim1_dp_op_CI_CI,@function
bluestein_single_fwd_len1950_dim1_dp_op_CI_CI: ; @bluestein_single_fwd_len1950_dim1_dp_op_CI_CI
; %bb.0:
	s_load_b128 s[8:11], s[0:1], 0x28
	v_mul_u32_u24_e32 v1, 0x151, v0
	s_mov_b32 s2, exec_lo
	v_mov_b32_e32 v215, 0
	s_delay_alu instid0(VALU_DEP_2) | instskip(NEXT) | instid1(VALU_DEP_1)
	v_lshrrev_b32_e32 v1, 16, v1
	v_add_nc_u32_e32 v214, ttmp9, v1
	s_wait_kmcnt 0x0
	s_delay_alu instid0(VALU_DEP_1)
	v_cmpx_gt_u64_e64 s[8:9], v[214:215]
	s_cbranch_execz .LBB0_23
; %bb.1:
	s_clause 0x1
	s_load_b64 s[8:9], s[0:1], 0x0
	s_load_b64 s[12:13], s[0:1], 0x38
	v_mul_lo_u16 v1, 0xc3, v1
	s_delay_alu instid0(VALU_DEP_1) | instskip(NEXT) | instid1(VALU_DEP_1)
	v_sub_nc_u16 v0, v0, v1
	v_and_b32_e32 v215, 0xffff, v0
	v_cmp_gt_u16_e32 vcc_lo, 0x96, v0
	s_delay_alu instid0(VALU_DEP_2)
	v_lshlrev_b32_e32 v255, 4, v215
	s_and_saveexec_b32 s3, vcc_lo
	s_cbranch_execz .LBB0_3
; %bb.2:
	s_load_b64 s[4:5], s[0:1], 0x18
	s_wait_kmcnt 0x0
	s_load_b128 s[4:7], s[4:5], 0x0
	s_wait_kmcnt 0x0
	v_mad_co_u64_u32 v[16:17], null, s4, v215, 0
	v_mad_co_u64_u32 v[0:1], null, s6, v214, 0
	s_delay_alu instid0(VALU_DEP_2) | instskip(NEXT) | instid1(VALU_DEP_1)
	v_mov_b32_e32 v2, v17
	v_mad_co_u64_u32 v[3:4], null, s7, v214, v[1:2]
	s_delay_alu instid0(VALU_DEP_1) | instskip(SKIP_2) | instid1(VALU_DEP_2)
	v_mov_b32_e32 v1, v3
	v_mad_co_u64_u32 v[4:5], null, s5, v215, v[2:3]
	s_mul_u64 s[4:5], s[4:5], 0x960
	v_lshlrev_b64_e32 v[18:19], 4, v[0:1]
	s_delay_alu instid0(VALU_DEP_2)
	v_mov_b32_e32 v17, v4
	s_clause 0x3
	global_load_b128 v[0:3], v255, s[8:9]
	global_load_b128 v[4:7], v255, s[8:9] offset:2400
	global_load_b128 v[8:11], v255, s[8:9] offset:4800
	;; [unrolled: 1-line block ×3, first 2 shown]
	v_add_co_u32 v26, s2, s10, v18
	s_delay_alu instid0(VALU_DEP_1)
	v_add_co_ci_u32_e64 v27, s2, s11, v19, s2
	v_lshlrev_b64_e32 v[24:25], 4, v[16:17]
	s_clause 0x1
	global_load_b128 v[16:19], v255, s[8:9] offset:9600
	global_load_b128 v[20:23], v255, s[8:9] offset:12000
	v_add_co_u32 v40, s2, v26, v24
	s_wait_alu 0xf1ff
	v_add_co_ci_u32_e64 v41, s2, v27, v25, s2
	s_clause 0x1
	global_load_b128 v[24:27], v255, s[8:9] offset:14400
	global_load_b128 v[28:31], v255, s[8:9] offset:16800
	s_wait_alu 0xfffe
	v_add_co_u32 v44, s2, v40, s4
	s_wait_alu 0xf1ff
	v_add_co_ci_u32_e64 v45, s2, s5, v41, s2
	s_clause 0x1
	global_load_b128 v[32:35], v255, s[8:9] offset:19200
	global_load_b128 v[36:39], v255, s[8:9] offset:21600
	v_add_co_u32 v48, s2, v44, s4
	s_wait_alu 0xf1ff
	v_add_co_ci_u32_e64 v49, s2, s5, v45, s2
	s_clause 0x1
	global_load_b128 v[40:43], v[40:41], off
	global_load_b128 v[44:47], v[44:45], off
	v_add_co_u32 v52, s2, v48, s4
	s_wait_alu 0xf1ff
	v_add_co_ci_u32_e64 v53, s2, s5, v49, s2
	s_delay_alu instid0(VALU_DEP_2) | instskip(SKIP_1) | instid1(VALU_DEP_2)
	v_add_co_u32 v56, s2, v52, s4
	s_wait_alu 0xf1ff
	v_add_co_ci_u32_e64 v57, s2, s5, v53, s2
	s_clause 0x1
	global_load_b128 v[48:51], v[48:49], off
	global_load_b128 v[52:55], v[52:53], off
	v_add_co_u32 v60, s2, v56, s4
	s_wait_alu 0xf1ff
	v_add_co_ci_u32_e64 v61, s2, s5, v57, s2
	global_load_b128 v[56:59], v[56:57], off
	v_add_co_u32 v64, s2, v60, s4
	s_wait_alu 0xf1ff
	v_add_co_ci_u32_e64 v65, s2, s5, v61, s2
	global_load_b128 v[60:63], v[60:61], off
	v_add_co_u32 v68, s2, v64, s4
	s_wait_alu 0xf1ff
	v_add_co_ci_u32_e64 v69, s2, s5, v65, s2
	global_load_b128 v[64:67], v[64:65], off
	v_add_co_u32 v72, s2, v68, s4
	s_wait_alu 0xf1ff
	v_add_co_ci_u32_e64 v73, s2, s5, v69, s2
	global_load_b128 v[68:71], v[68:69], off
	v_add_co_u32 v76, s2, v72, s4
	s_wait_alu 0xf1ff
	v_add_co_ci_u32_e64 v77, s2, s5, v73, s2
	global_load_b128 v[72:75], v[72:73], off
	v_add_co_u32 v80, s2, v76, s4
	s_wait_alu 0xf1ff
	v_add_co_ci_u32_e64 v81, s2, s5, v77, s2
	global_load_b128 v[76:79], v[76:77], off
	v_add_co_u32 v92, s2, v80, s4
	s_wait_alu 0xf1ff
	v_add_co_ci_u32_e64 v93, s2, s5, v81, s2
	global_load_b128 v[80:83], v[80:81], off
	v_add_co_u32 v100, s2, v92, s4
	s_wait_alu 0xf1ff
	v_add_co_ci_u32_e64 v101, s2, s5, v93, s2
	s_clause 0x1
	global_load_b128 v[84:87], v255, s[8:9] offset:24000
	global_load_b128 v[88:91], v255, s[8:9] offset:26400
	global_load_b128 v[92:95], v[92:93], off
	global_load_b128 v[96:99], v255, s[8:9] offset:28800
	global_load_b128 v[100:103], v[100:101], off
	s_wait_loadcnt 0xf
	v_mul_f64_e32 v[104:105], v[42:43], v[2:3]
	v_mul_f64_e32 v[2:3], v[40:41], v[2:3]
	s_wait_loadcnt 0xe
	v_mul_f64_e32 v[106:107], v[46:47], v[6:7]
	v_mul_f64_e32 v[6:7], v[44:45], v[6:7]
	;; [unrolled: 3-line block ×10, first 2 shown]
	v_fma_f64 v[38:39], v[40:41], v[0:1], v[104:105]
	v_fma_f64 v[40:41], v[42:43], v[0:1], -v[2:3]
	v_fma_f64 v[0:1], v[44:45], v[4:5], v[106:107]
	v_fma_f64 v[2:3], v[46:47], v[4:5], -v[6:7]
	s_wait_loadcnt 0x4
	v_mul_f64_e32 v[126:127], v[82:83], v[86:87]
	v_mul_f64_e32 v[86:87], v[80:81], v[86:87]
	s_wait_loadcnt 0x2
	v_mul_f64_e32 v[128:129], v[94:95], v[90:91]
	v_mul_f64_e32 v[90:91], v[92:93], v[90:91]
	;; [unrolled: 3-line block ×3, first 2 shown]
	v_fma_f64 v[4:5], v[48:49], v[8:9], v[108:109]
	v_fma_f64 v[6:7], v[50:51], v[8:9], -v[10:11]
	v_fma_f64 v[8:9], v[52:53], v[12:13], v[110:111]
	v_fma_f64 v[10:11], v[54:55], v[12:13], -v[14:15]
	;; [unrolled: 2-line block ×11, first 2 shown]
	ds_store_b128 v255, v[38:41]
	ds_store_b128 v255, v[0:3] offset:2400
	ds_store_b128 v255, v[4:7] offset:4800
	;; [unrolled: 1-line block ×12, first 2 shown]
.LBB0_3:
	s_or_b32 exec_lo, exec_lo, s3
	s_clause 0x1
	s_load_b64 s[4:5], s[0:1], 0x20
	s_load_b64 s[2:3], s[0:1], 0x8
	global_wb scope:SCOPE_SE
	s_wait_dscnt 0x0
	s_wait_kmcnt 0x0
	s_barrier_signal -1
	s_barrier_wait -1
	global_inv scope:SCOPE_SE
                                        ; implicit-def: $vgpr20_vgpr21
                                        ; implicit-def: $vgpr40_vgpr41
                                        ; implicit-def: $vgpr44_vgpr45
                                        ; implicit-def: $vgpr48_vgpr49
                                        ; implicit-def: $vgpr52_vgpr53
                                        ; implicit-def: $vgpr36_vgpr37
                                        ; implicit-def: $vgpr32_vgpr33
                                        ; implicit-def: $vgpr28_vgpr29
                                        ; implicit-def: $vgpr24_vgpr25
                                        ; implicit-def: $vgpr16_vgpr17
                                        ; implicit-def: $vgpr12_vgpr13
                                        ; implicit-def: $vgpr8_vgpr9
                                        ; implicit-def: $vgpr4_vgpr5
	s_and_saveexec_b32 s0, vcc_lo
	s_cbranch_execz .LBB0_5
; %bb.4:
	ds_load_b128 v[20:23], v255
	ds_load_b128 v[40:43], v255 offset:2400
	ds_load_b128 v[44:47], v255 offset:4800
	;; [unrolled: 1-line block ×12, first 2 shown]
.LBB0_5:
	s_wait_alu 0xfffe
	s_or_b32 exec_lo, exec_lo, s0
	s_wait_dscnt 0x0
	v_add_f64_e64 v[175:176], v[42:43], -v[6:7]
	v_add_f64_e64 v[74:75], v[40:41], -v[4:5]
	s_mov_b32 s0, 0x4267c47c
	s_mov_b32 s10, 0x42a4c3d2
	;; [unrolled: 1-line block ×6, first 2 shown]
	v_add_f64_e32 v[72:73], v[40:41], v[4:5]
	v_add_f64_e32 v[173:174], v[42:43], v[6:7]
	v_add_f64_e64 v[118:119], v[46:47], -v[10:11]
	v_add_f64_e64 v[58:59], v[44:45], -v[8:9]
	s_mov_b32 s18, 0xe00740e9
	s_mov_b32 s6, 0x1ea71119
	;; [unrolled: 1-line block ×10, first 2 shown]
	v_add_f64_e32 v[56:57], v[44:45], v[8:9]
	v_add_f64_e32 v[161:162], v[46:47], v[10:11]
	v_add_f64_e64 v[179:180], v[50:51], -v[14:15]
	v_add_f64_e64 v[122:123], v[48:49], -v[12:13]
	s_mov_b32 s22, 0xb2365da1
	s_mov_b32 s28, 0x93053d00
	;; [unrolled: 1-line block ×6, first 2 shown]
	v_add_f64_e32 v[82:83], v[48:49], v[12:13]
	v_add_f64_e32 v[183:184], v[50:51], v[14:15]
	v_add_f64_e64 v[60:61], v[52:53], -v[16:17]
	v_add_f64_e64 v[78:79], v[54:55], -v[18:19]
	s_mov_b32 s38, 0x24c2f84
	s_mov_b32 s39, 0x3fe5384d
	s_wait_alu 0xfffe
	v_mul_f64_e32 v[146:147], s[0:1], v[175:176]
	v_mul_f64_e32 v[150:151], s[0:1], v[74:75]
	;; [unrolled: 1-line block ×6, first 2 shown]
	s_mov_b32 s31, 0x3fddbe06
	s_mov_b32 s30, s0
	v_add_f64_e32 v[181:182], v[54:55], v[18:19]
	v_add_f64_e64 v[144:145], v[38:39], -v[26:27]
	v_mul_f64_e32 v[66:67], s[10:11], v[118:119]
	v_mul_f64_e32 v[76:77], s[10:11], v[58:59]
	;; [unrolled: 1-line block ×6, first 2 shown]
	s_mov_b32 s36, 0xd0032e0c
	s_mov_b32 s37, 0xbfe7f3cc
	;; [unrolled: 1-line block ×6, first 2 shown]
	v_add_f64_e32 v[171:172], v[38:39], v[26:27]
	v_add_f64_e64 v[169:170], v[34:35], -v[30:31]
	v_mul_f64_e32 v[114:115], s[14:15], v[179:180]
	v_mul_f64_e32 v[126:127], s[14:15], v[122:123]
	;; [unrolled: 1-line block ×6, first 2 shown]
	v_mul_lo_u16 v160, v215, 13
	v_mul_f64_e32 v[98:99], s[20:21], v[60:61]
	v_mul_f64_e32 v[94:95], s[20:21], v[78:79]
	;; [unrolled: 1-line block ×4, first 2 shown]
	v_fma_f64 v[0:1], v[72:73], s[18:19], v[146:147]
	v_fma_f64 v[2:3], v[173:174], s[18:19], -v[150:151]
	v_fma_f64 v[62:63], v[72:73], s[6:7], v[152:153]
	v_fma_f64 v[64:65], v[173:174], s[6:7], -v[154:155]
	;; [unrolled: 2-line block ×3, first 2 shown]
	v_mul_f64_e32 v[124:125], s[30:31], v[78:79]
	v_mul_f64_e32 v[132:133], s[30:31], v[60:61]
	scratch_store_b32 off, v160, off        ; 4-byte Folded Spill
	v_mul_f64_e32 v[128:129], s[40:41], v[144:145]
	v_fma_f64 v[84:85], v[56:57], s[6:7], v[66:67]
	v_fma_f64 v[88:89], v[161:162], s[6:7], -v[76:77]
	v_fma_f64 v[90:91], v[56:57], s[22:23], v[80:81]
	v_fma_f64 v[96:97], v[161:162], s[22:23], -v[86:87]
	v_fma_f64 v[100:101], v[56:57], s[28:29], v[92:93]
	v_fma_f64 v[104:105], v[161:162], s[28:29], -v[102:103]
	v_mul_f64_e32 v[136:137], s[34:35], v[144:145]
	v_mul_f64_e32 v[140:141], s[10:11], v[144:145]
	global_wb scope:SCOPE_SE
	s_wait_storecnt 0x0
	s_barrier_signal -1
	s_barrier_wait -1
	global_inv scope:SCOPE_SE
	v_fma_f64 v[110:111], v[82:83], s[16:17], v[114:115]
	v_fma_f64 v[120:121], v[183:184], s[16:17], -v[126:127]
	v_fma_f64 v[130:131], v[82:83], s[28:29], v[148:149]
	v_fma_f64 v[177:178], v[183:184], s[28:29], -v[156:157]
	;; [unrolled: 2-line block ×3, first 2 shown]
	v_fma_f64 v[189:190], v[181:182], s[36:37], -v[116:117]
	v_add_f64_e32 v[0:1], v[20:21], v[0:1]
	v_add_f64_e32 v[2:3], v[22:23], v[2:3]
	;; [unrolled: 1-line block ×7, first 2 shown]
	v_add_f64_e64 v[64:65], v[36:37], -v[24:25]
	v_fma_f64 v[193:194], v[181:182], s[18:19], -v[132:133]
	v_add_f64_e32 v[0:1], v[84:85], v[0:1]
	v_add_f64_e32 v[2:3], v[88:89], v[2:3]
	;; [unrolled: 1-line block ×7, first 2 shown]
	v_add_f64_e64 v[68:69], v[32:33], -v[28:29]
	v_mul_f64_e32 v[134:135], s[40:41], v[64:65]
	v_mul_f64_e32 v[138:139], s[34:35], v[64:65]
	;; [unrolled: 1-line block ×3, first 2 shown]
	v_fma_f64 v[104:105], v[62:63], s[22:23], v[94:95]
	v_fma_f64 v[106:107], v[181:182], s[22:23], -v[98:99]
	v_fma_f64 v[108:109], v[62:63], s[36:37], v[112:113]
	v_fma_f64 v[191:192], v[62:63], s[18:19], v[124:125]
	v_add_f64_e32 v[0:1], v[110:111], v[0:1]
	v_add_f64_e32 v[2:3], v[120:121], v[2:3]
	;; [unrolled: 1-line block ×8, first 2 shown]
	v_mul_f64_e32 v[88:89], s[26:27], v[169:170]
	v_mul_f64_e32 v[90:91], s[26:27], v[68:69]
	;; [unrolled: 1-line block ×6, first 2 shown]
	v_fma_f64 v[197:198], v[70:71], s[36:37], v[128:129]
	v_fma_f64 v[199:200], v[171:172], s[36:37], -v[134:135]
	v_fma_f64 v[201:202], v[70:71], s[16:17], v[136:137]
	v_fma_f64 v[203:204], v[171:172], s[16:17], -v[138:139]
	;; [unrolled: 2-line block ×3, first 2 shown]
	v_add_f64_e32 v[0:1], v[104:105], v[0:1]
	v_add_f64_e32 v[2:3], v[106:107], v[2:3]
	v_add_f64_e32 v[104:105], v[108:109], v[110:111]
	v_add_f64_e32 v[106:107], v[189:190], v[195:196]
	v_add_f64_e32 v[108:109], v[191:192], v[185:186]
	v_add_f64_e32 v[110:111], v[193:194], v[187:188]
	v_fma_f64 v[185:186], v[84:85], s[28:29], v[88:89]
	v_fma_f64 v[187:188], v[177:178], s[28:29], -v[90:91]
	v_fma_f64 v[189:190], v[84:85], s[18:19], v[96:97]
	v_fma_f64 v[191:192], v[177:178], s[18:19], -v[100:101]
	;; [unrolled: 2-line block ×3, first 2 shown]
	v_add_f64_e32 v[0:1], v[197:198], v[0:1]
	v_add_f64_e32 v[2:3], v[199:200], v[2:3]
	v_add_f64_e32 v[104:105], v[201:202], v[104:105]
	v_add_f64_e32 v[106:107], v[203:204], v[106:107]
	v_add_f64_e32 v[197:198], v[205:206], v[108:109]
	v_add_f64_e32 v[199:200], v[207:208], v[110:111]
	v_add_f64_e32 v[0:1], v[185:186], v[0:1]
	v_add_f64_e32 v[2:3], v[187:188], v[2:3]
	v_add_f64_e32 v[108:109], v[189:190], v[104:105]
	v_add_f64_e32 v[110:111], v[191:192], v[106:107]
	v_add_f64_e32 v[104:105], v[193:194], v[197:198]
	v_add_f64_e32 v[106:107], v[195:196], v[199:200]
	s_and_saveexec_b32 s33, vcc_lo
	s_cbranch_execz .LBB0_7
; %bb.6:
	v_add_f64_e32 v[42:43], v[22:23], v[42:43]
	v_add_f64_e32 v[40:41], v[20:21], v[40:41]
	v_mul_f64_e32 v[185:186], s[16:17], v[72:73]
	v_mul_f64_e32 v[187:188], s[6:7], v[173:174]
	;; [unrolled: 1-line block ×4, first 2 shown]
	s_mov_b32 s45, 0x3fcea1e5
	s_mov_b32 s44, s26
	v_mul_f64_e32 v[195:196], s[36:37], v[183:184]
	v_mul_f64_e32 v[197:198], s[18:19], v[161:162]
	;; [unrolled: 1-line block ×8, first 2 shown]
	s_mov_b32 s43, 0x3fea55e2
	s_mov_b32 s42, s10
	v_mul_f64_e32 v[225:226], s[40:41], v[179:180]
	v_mul_f64_e32 v[229:230], s[10:11], v[179:180]
	;; [unrolled: 1-line block ×7, first 2 shown]
	v_dual_mov_b32 v251, v214 :: v_dual_mov_b32 v252, v215
	v_mul_f64_e32 v[215:216], s[18:19], v[181:182]
	v_mul_f64_e32 v[223:224], s[28:29], v[183:184]
	;; [unrolled: 1-line block ×9, first 2 shown]
	v_add_f64_e32 v[42:43], v[42:43], v[46:47]
	v_add_f64_e32 v[40:41], v[40:41], v[44:45]
	v_mul_f64_e32 v[44:45], s[28:29], v[173:174]
	v_mul_f64_e32 v[46:47], s[26:27], v[175:176]
	v_add_f64_e32 v[154:155], v[154:155], v[187:188]
	v_add_f64_e64 v[152:153], v[189:190], -v[152:153]
	v_add_f64_e64 v[146:147], v[191:192], -v[146:147]
	v_mul_f64_e32 v[187:188], s[36:37], v[70:71]
	v_fma_f64 v[247:248], v[122:123], s[38:39], v[195:196]
	v_fma_f64 v[249:250], v[58:59], s[0:1], v[197:198]
	;; [unrolled: 1-line block ×4, first 2 shown]
	v_add_f64_e32 v[102:103], v[102:103], v[199:200]
	v_mul_f64_e32 v[191:192], s[16:17], v[70:71]
	v_mul_f64_e32 v[189:190], s[36:37], v[171:172]
	v_add_f64_e32 v[86:87], v[86:87], v[221:222]
	v_mul_f64_e32 v[221:222], s[18:19], v[177:178]
	v_mul_f64_e32 v[199:200], s[28:29], v[84:85]
	v_add_f64_e64 v[80:81], v[231:232], -v[80:81]
	v_fma_f64 v[231:232], v[82:83], s[36:37], v[225:226]
	v_fma_f64 v[225:226], v[82:83], s[36:37], -v[225:226]
	v_add_f64_e32 v[167:168], v[167:168], v[209:210]
	v_mul_f64_e32 v[209:210], s[6:7], v[171:172]
	v_add_f64_e32 v[156:157], v[156:157], v[223:224]
	v_add_f64_e64 v[148:149], v[227:228], -v[148:149]
	v_mul_f64_e32 v[227:228], s[22:23], v[171:172]
	v_add_f64_e32 v[126:127], v[126:127], v[183:184]
	v_mul_f64_e32 v[183:184], s[18:19], v[171:172]
	v_add_f64_e32 v[116:117], v[116:117], v[219:220]
	;; [unrolled: 2-line block ×4, first 2 shown]
	v_add_f64_e32 v[42:43], v[42:43], v[50:51]
	v_add_f64_e32 v[40:41], v[40:41], v[48:49]
	v_mul_f64_e32 v[48:49], s[36:37], v[173:174]
	v_mul_f64_e32 v[50:51], s[40:41], v[175:176]
	v_fma_f64 v[233:234], v[74:75], s[44:45], v[44:45]
	v_fma_f64 v[235:236], v[72:73], s[28:29], v[46:47]
	v_fma_f64 v[44:45], v[74:75], s[26:27], v[44:45]
	v_fma_f64 v[46:47], v[72:73], s[28:29], -v[46:47]
	v_add_f64_e32 v[154:155], v[22:23], v[154:155]
	v_add_f64_e32 v[152:153], v[20:21], v[152:153]
	v_add_f64_e64 v[128:129], v[187:188], -v[128:129]
	v_add_f64_e64 v[136:137], v[191:192], -v[136:137]
	v_add_f64_e32 v[134:135], v[134:135], v[189:190]
	v_add_f64_e64 v[88:89], v[199:200], -v[88:89]
	v_add_f64_e32 v[142:143], v[142:143], v[209:210]
	;; [unrolled: 2-line block ×3, first 2 shown]
	v_add_f64_e32 v[40:41], v[40:41], v[52:53]
	v_mul_f64_e32 v[52:53], s[22:23], v[173:174]
	v_mul_f64_e32 v[54:55], s[20:21], v[175:176]
	;; [unrolled: 1-line block ×4, first 2 shown]
	v_fma_f64 v[237:238], v[74:75], s[38:39], v[48:49]
	v_fma_f64 v[239:240], v[72:73], s[36:37], v[50:51]
	;; [unrolled: 1-line block ×3, first 2 shown]
	v_fma_f64 v[50:51], v[72:73], s[36:37], -v[50:51]
	v_add_f64_e32 v[233:234], v[22:23], v[233:234]
	v_add_f64_e32 v[235:236], v[20:21], v[235:236]
	;; [unrolled: 1-line block ×7, first 2 shown]
	v_mul_f64_e32 v[40:41], s[36:37], v[161:162]
	v_fma_f64 v[241:242], v[74:75], s[24:25], v[52:53]
	v_fma_f64 v[243:244], v[72:73], s[22:23], v[54:55]
	;; [unrolled: 1-line block ×3, first 2 shown]
	v_fma_f64 v[54:55], v[72:73], s[22:23], -v[54:55]
	v_add_f64_e32 v[72:73], v[163:164], v[175:176]
	v_add_f64_e64 v[74:75], v[185:186], -v[158:159]
	v_add_f64_e32 v[150:151], v[150:151], v[173:174]
	v_mul_f64_e32 v[158:159], s[6:7], v[161:162]
	v_mul_f64_e32 v[160:161], s[30:31], v[118:119]
	;; [unrolled: 1-line block ×5, first 2 shown]
	v_add_f64_e32 v[237:238], v[22:23], v[237:238]
	v_add_f64_e32 v[239:240], v[20:21], v[239:240]
	;; [unrolled: 1-line block ×4, first 2 shown]
	v_add_f64_e64 v[164:165], v[207:208], -v[165:166]
	v_mul_f64_e32 v[42:43], s[28:29], v[56:57]
	v_mul_f64_e32 v[162:163], s[16:17], v[82:83]
	v_add_f64_e32 v[233:234], v[249:250], v[233:234]
	v_add_f64_e32 v[44:45], v[197:198], v[44:45]
	v_mul_f64_e32 v[185:186], s[22:23], v[62:63]
	v_add_f64_e32 v[80:81], v[148:149], v[80:81]
	v_mul_f64_e32 v[197:198], s[16:17], v[177:178]
	v_fma_f64 v[148:149], v[64:65], s[30:31], v[183:184]
	v_mul_f64_e32 v[249:250], s[36:37], v[84:85]
	v_add_f64_e32 v[34:35], v[38:39], v[34:35]
	v_add_f64_e32 v[32:33], v[36:37], v[32:33]
	v_mul_f64_e32 v[36:37], s[36:37], v[62:63]
	v_add_f64_e32 v[241:242], v[22:23], v[241:242]
	v_add_f64_e32 v[243:244], v[20:21], v[243:244]
	;; [unrolled: 1-line block ×8, first 2 shown]
	v_fma_f64 v[146:147], v[122:123], s[42:43], v[203:204]
	v_fma_f64 v[150:151], v[122:123], s[10:11], v[203:204]
	;; [unrolled: 1-line block ×6, first 2 shown]
	v_mul_f64_e32 v[38:39], s[14:15], v[78:79]
	v_fma_f64 v[205:206], v[58:59], s[34:35], v[205:206]
	v_add_f64_e32 v[76:77], v[76:77], v[158:159]
	v_fma_f64 v[158:159], v[56:57], s[36:37], -v[118:119]
	v_fma_f64 v[173:174], v[56:57], s[16:17], -v[173:174]
	v_add_f64_e64 v[66:67], v[175:176], -v[66:67]
	v_add_f64_e64 v[42:43], v[42:43], -v[92:93]
	v_fma_f64 v[175:176], v[82:83], s[18:19], v[179:180]
	v_add_f64_e64 v[114:115], v[162:163], -v[114:115]
	v_mul_f64_e32 v[162:163], s[30:31], v[144:145]
	v_add_f64_e32 v[44:45], v[195:196], v[44:45]
	v_add_f64_e64 v[94:95], v[185:186], -v[94:95]
	v_mul_f64_e32 v[92:93], s[28:29], v[177:178]
	v_add_f64_e32 v[30:31], v[34:35], v[30:31]
	v_fma_f64 v[34:35], v[56:57], s[18:19], v[160:161]
	v_fma_f64 v[160:161], v[56:57], s[18:19], -v[160:161]
	v_add_f64_e32 v[28:29], v[32:33], v[28:29]
	v_fma_f64 v[32:33], v[58:59], s[40:41], v[40:41]
	v_fma_f64 v[40:41], v[58:59], s[38:39], v[40:41]
	;; [unrolled: 1-line block ×4, first 2 shown]
	v_fma_f64 v[229:230], v[82:83], s[6:7], -v[229:230]
	v_fma_f64 v[82:83], v[82:83], s[18:19], -v[179:180]
	v_mul_f64_e32 v[179:180], s[20:21], v[144:145]
	v_add_f64_e64 v[36:37], v[36:37], -v[112:113]
	v_mul_f64_e32 v[58:59], s[6:7], v[70:71]
	v_mul_f64_e32 v[144:145], s[44:45], v[144:145]
	v_add_f64_e32 v[217:218], v[217:218], v[237:238]
	v_add_f64_e32 v[207:208], v[207:208], v[239:240]
	v_fma_f64 v[112:113], v[62:63], s[16:17], v[38:39]
	v_add_f64_e32 v[48:49], v[205:206], v[48:49]
	v_add_f64_e32 v[22:23], v[76:77], v[22:23]
	;; [unrolled: 1-line block ×3, first 2 shown]
	v_fma_f64 v[38:39], v[62:63], s[16:17], -v[38:39]
	v_add_f64_e32 v[20:21], v[66:67], v[20:21]
	v_fma_f64 v[66:67], v[60:61], s[26:27], v[201:202]
	v_mul_f64_e32 v[205:206], s[20:21], v[169:170]
	v_add_f64_e32 v[42:43], v[42:43], v[74:75]
	v_fma_f64 v[74:75], v[60:61], s[44:45], v[201:202]
	v_add_f64_e32 v[50:51], v[173:174], v[50:51]
	v_fma_f64 v[76:77], v[60:61], s[34:35], v[213:214]
	v_mul_f64_e32 v[239:240], s[22:23], v[177:178]
	v_mul_f64_e32 v[237:238], s[34:35], v[169:170]
	;; [unrolled: 1-line block ×3, first 2 shown]
	v_add_f64_e32 v[90:91], v[90:91], v[92:93]
	v_add_f64_e32 v[26:27], v[30:31], v[26:27]
	v_fma_f64 v[30:31], v[60:61], s[42:43], v[193:194]
	v_add_f64_e32 v[46:47], v[160:161], v[46:47]
	v_mul_f64_e32 v[160:161], s[42:43], v[78:79]
	v_mul_f64_e32 v[78:79], s[44:45], v[78:79]
	v_add_f64_e32 v[40:41], v[40:41], v[52:53]
	v_add_f64_e32 v[52:53], v[102:103], v[72:73]
	v_add_f64_e32 v[72:73], v[86:87], v[154:155]
	v_add_f64_e32 v[24:25], v[28:29], v[24:25]
	v_fma_f64 v[28:29], v[60:61], s[10:11], v[193:194]
	v_add_f64_e32 v[86:87], v[132:133], v[215:216]
	v_add_f64_e64 v[102:103], v[211:212], -v[124:125]
	v_add_f64_e64 v[58:59], v[58:59], -v[140:141]
	v_fma_f64 v[140:141], v[70:71], s[28:29], v[144:145]
	v_add_f64_e32 v[34:35], v[34:35], v[235:236]
	v_add_f64_e32 v[146:147], v[146:147], v[217:218]
	;; [unrolled: 1-line block ×7, first 2 shown]
	v_fma_f64 v[82:83], v[64:65], s[20:21], v[227:228]
	v_add_f64_e32 v[20:21], v[114:115], v[20:21]
	v_fma_f64 v[114:115], v[70:71], s[22:23], -v[179:180]
	v_fma_f64 v[126:127], v[70:71], s[18:19], v[162:163]
	v_fma_f64 v[150:151], v[70:71], s[18:19], -v[162:163]
	v_add_f64_e32 v[56:57], v[56:57], v[243:244]
	v_fma_f64 v[60:61], v[60:61], s[14:15], v[213:214]
	v_add_f64_e32 v[42:43], v[164:165], v[42:43]
	v_add_f64_e32 v[50:51], v[229:230], v[50:51]
	;; [unrolled: 1-line block ×3, first 2 shown]
	v_mul_f64_e32 v[235:236], s[36:37], v[177:178]
	v_mul_f64_e32 v[177:178], s[6:7], v[177:178]
	v_fma_f64 v[154:155], v[64:65], s[26:27], v[171:172]
	v_fma_f64 v[92:93], v[84:85], s[6:7], v[169:170]
	v_dual_mov_b32 v215, v252 :: v_dual_mov_b32 v214, v251
	v_add_f64_e32 v[18:19], v[26:27], v[18:19]
	v_add_f64_e32 v[30:31], v[30:31], v[44:45]
	;; [unrolled: 1-line block ×3, first 2 shown]
	v_fma_f64 v[124:125], v[62:63], s[6:7], v[160:161]
	v_fma_f64 v[132:133], v[62:63], s[6:7], -v[160:161]
	v_fma_f64 v[152:153], v[62:63], s[28:29], v[78:79]
	v_fma_f64 v[62:63], v[62:63], s[28:29], -v[78:79]
	v_add_f64_e32 v[78:79], v[247:248], v[233:234]
	v_add_f64_e32 v[16:17], v[24:25], v[16:17]
	v_fma_f64 v[24:25], v[64:65], s[24:25], v[227:228]
	v_fma_f64 v[26:27], v[70:71], s[22:23], v[179:180]
	v_fma_f64 v[70:71], v[70:71], s[28:29], -v[144:145]
	v_add_f64_e32 v[40:41], v[122:123], v[40:41]
	v_add_f64_e32 v[52:53], v[167:168], v[52:53]
	;; [unrolled: 1-line block ×4, first 2 shown]
	v_fma_f64 v[122:123], v[64:65], s[0:1], v[183:184]
	v_add_f64_e32 v[32:33], v[203:204], v[32:33]
	v_add_f64_e32 v[48:49], v[74:75], v[48:49]
	v_fma_f64 v[74:75], v[84:85], s[22:23], v[205:206]
	v_add_f64_e32 v[38:39], v[38:39], v[54:55]
	v_fma_f64 v[64:65], v[64:65], s[44:45], v[171:172]
	v_add_f64_e32 v[22:23], v[98:99], v[22:23]
	v_add_f64_e32 v[98:99], v[100:101], v[221:222]
	;; [unrolled: 1-line block ×5, first 2 shown]
	v_fma_f64 v[80:81], v[68:69], s[10:11], v[177:178]
	v_add_f64_e32 v[14:15], v[18:19], v[14:15]
	v_fma_f64 v[18:19], v[68:69], s[14:15], v[197:198]
	v_add_f64_e32 v[44:45], v[132:133], v[46:47]
	v_add_f64_e32 v[46:47], v[66:67], v[146:147]
	;; [unrolled: 1-line block ×7, first 2 shown]
	v_fma_f64 v[62:63], v[84:85], s[16:17], -v[237:238]
	v_add_f64_e32 v[40:41], v[60:61], v[40:41]
	v_add_f64_e32 v[52:53], v[86:87], v[52:53]
	v_add_f64_e32 v[34:35], v[124:125], v[34:35]
	v_add_f64_e32 v[60:61], v[116:117], v[72:73]
	v_fma_f64 v[72:73], v[68:69], s[24:25], v[239:240]
	v_add_f64_e32 v[32:33], v[76:77], v[32:33]
	v_add_f64_e32 v[86:87], v[130:131], v[235:236]
	v_add_f64_e64 v[94:95], v[249:250], -v[120:121]
	v_add_f64_e32 v[38:39], v[70:71], v[38:39]
	v_fma_f64 v[20:21], v[84:85], s[16:17], v[237:238]
	v_fma_f64 v[76:77], v[68:69], s[20:21], v[239:240]
	v_fma_f64 v[78:79], v[84:85], s[22:23], -v[205:206]
	v_fma_f64 v[84:85], v[84:85], s[6:7], -v[169:170]
	v_add_f64_e32 v[54:55], v[112:113], v[56:57]
	v_fma_f64 v[56:57], v[68:69], s[34:35], v[197:198]
	v_add_f64_e32 v[42:43], v[58:59], v[42:43]
	v_fma_f64 v[68:69], v[68:69], s[42:43], v[177:178]
	v_add_f64_e32 v[24:25], v[24:25], v[28:29]
	v_add_f64_e32 v[28:29], v[82:83], v[30:31]
	;; [unrolled: 1-line block ×22, first 2 shown]
	scratch_load_b32 v44, off, off          ; 4-byte Folded Reload
	v_add_f64_e32 v[28:29], v[94:95], v[42:43]
	v_add_f64_e32 v[24:25], v[84:85], v[38:39]
	;; [unrolled: 1-line block ×15, first 2 shown]
	s_wait_loadcnt 0x0
	v_and_b32_e32 v44, 0xffff, v44
	s_delay_alu instid0(VALU_DEP_1)
	v_lshlrev_b32_e32 v44, 4, v44
	ds_store_b128 v44, v[104:107] offset:160
	ds_store_b128 v44, v[108:111] offset:176
	;; [unrolled: 1-line block ×10, first 2 shown]
	ds_store_b128 v44, v[4:7]
	ds_store_b128 v44, v[40:43] offset:16
	ds_store_b128 v44, v[0:3] offset:192
.LBB0_7:
	s_or_b32 exec_lo, exec_lo, s33
	v_add_co_u32 v60, s0, 0xc3, v215
	v_and_b32_e32 v36, 0xff, v215
	s_load_b128 s[4:7], s[4:5], 0x0
	global_wb scope:SCOPE_SE
	s_wait_dscnt 0x0
	v_and_b32_e32 v4, 0xffff, v60
	s_wait_kmcnt 0x0
	s_barrier_signal -1
	v_mul_lo_u16 v5, 0x4f, v36
	s_barrier_wait -1
	global_inv scope:SCOPE_SE
	v_mul_u32_u24_e32 v4, 0x4ec5, v4
	v_and_b32_e32 v41, 0xffff, v215
	v_lshrrev_b16 v38, 10, v5
	s_mov_b32 s10, 0x134454ff
	v_add_co_ci_u32_e64 v61, null, 0, 0, s0
	v_lshrrev_b32_e32 v37, 18, v4
	s_delay_alu instid0(VALU_DEP_3)
	v_mul_lo_u16 v4, v38, 13
	v_lshlrev_b32_e32 v160, 4, v41
	s_mov_b32 s11, 0x3fee6f0e
	s_mov_b32 s1, 0xbfee6f0e
	v_mul_lo_u16 v5, v37, 13
	v_sub_nc_u16 v4, v215, v4
	s_wait_alu 0xfffe
	s_mov_b32 s0, s10
	s_mov_b32 s16, 0x4755a5e
	;; [unrolled: 1-line block ×3, first 2 shown]
	v_sub_nc_u16 v40, v60, v5
	v_and_b32_e32 v39, 0xff, v4
	s_mov_b32 s15, 0xbfe2cf23
	s_wait_alu 0xfffe
	s_mov_b32 s14, s16
	s_mov_b32 s18, 0x372fe950
	v_lshlrev_b16 v4, 2, v40
	v_lshlrev_b32_e32 v12, 6, v39
	s_mov_b32 s19, 0x3fd3c6ef
	v_mul_lo_u16 v36, 0xfd, v36
	v_and_b32_e32 v38, 0xffff, v38
	v_and_b32_e32 v13, 0xffff, v4
	s_clause 0x2
	global_load_b128 v[16:19], v12, s[2:3]
	global_load_b128 v[8:11], v12, s[2:3] offset:16
	global_load_b128 v[4:7], v12, s[2:3] offset:32
	v_mad_u16 v37, 0x41, v37, v40
	s_mov_b32 s20, 0x9b97f4a8
	v_mul_u32_u24_e32 v38, 0x41, v38
	v_lshlrev_b32_e32 v24, 4, v13
	s_mov_b32 s21, 0x3fe9e377
	s_clause 0x4
	global_load_b128 v[12:15], v12, s[2:3] offset:48
	global_load_b128 v[20:23], v24, s[2:3]
	global_load_b128 v[32:35], v24, s[2:3] offset:16
	global_load_b128 v[28:31], v24, s[2:3] offset:32
	;; [unrolled: 1-line block ×3, first 2 shown]
	ds_load_b128 v[41:44], v160 offset:6240
	ds_load_b128 v[45:48], v160 offset:12480
	;; [unrolled: 1-line block ×8, first 2 shown]
	v_add_lshl_u32 v226, v38, v39, 4
	s_wait_loadcnt_dscnt 0x707
	v_mul_f64_e32 v[82:83], v[41:42], v[18:19]
	s_wait_loadcnt_dscnt 0x606
	v_mul_f64_e32 v[78:79], v[47:48], v[10:11]
	;; [unrolled: 2-line block ×3, first 2 shown]
	v_mul_f64_e32 v[86:87], v[45:46], v[10:11]
	v_mul_f64_e32 v[88:89], v[49:50], v[6:7]
	;; [unrolled: 1-line block ×3, first 2 shown]
	s_wait_loadcnt_dscnt 0x404
	v_mul_f64_e32 v[84:85], v[55:56], v[14:15]
	v_mul_f64_e32 v[90:91], v[53:54], v[14:15]
	s_wait_loadcnt_dscnt 0x202
	v_mul_f64_e32 v[94:95], v[68:69], v[34:35]
	s_wait_loadcnt_dscnt 0x101
	v_mul_f64_e32 v[96:97], v[72:73], v[30:31]
	v_mul_f64_e32 v[98:99], v[66:67], v[34:35]
	;; [unrolled: 1-line block ×4, first 2 shown]
	s_wait_loadcnt_dscnt 0x0
	v_mul_f64_e32 v[100:101], v[76:77], v[26:27]
	v_mul_f64_e32 v[112:113], v[62:63], v[22:23]
	v_mul_f64_e32 v[114:115], v[74:75], v[26:27]
	s_clause 0x2
	scratch_store_b128 off, v[8:11], off offset:20
	scratch_store_b128 off, v[4:7], off offset:4
	;; [unrolled: 1-line block ×3, first 2 shown]
	v_fma_f64 v[78:79], v[45:46], v[8:9], -v[78:79]
	v_fma_f64 v[49:50], v[49:50], v[4:5], -v[80:81]
	v_fma_f64 v[80:81], v[43:44], v[16:17], v[82:83]
	v_fma_f64 v[82:83], v[47:48], v[8:9], v[86:87]
	;; [unrolled: 1-line block ×3, first 2 shown]
	v_fma_f64 v[57:58], v[41:42], v[16:17], -v[57:58]
	v_fma_f64 v[53:54], v[53:54], v[12:13], -v[84:85]
	v_fma_f64 v[55:56], v[55:56], v[12:13], v[90:91]
	v_fma_f64 v[66:67], v[66:67], v[32:33], -v[94:95]
	v_fma_f64 v[70:71], v[70:71], v[28:29], -v[96:97]
	v_fma_f64 v[68:69], v[68:69], v[32:33], v[98:99]
	v_fma_f64 v[72:73], v[72:73], v[28:29], v[102:103]
	v_fma_f64 v[62:63], v[62:63], v[20:21], -v[92:93]
	v_fma_f64 v[74:75], v[74:75], v[24:25], -v[100:101]
	v_fma_f64 v[64:65], v[64:65], v[20:21], v[112:113]
	v_fma_f64 v[76:77], v[76:77], v[24:25], v[114:115]
	ds_load_b128 v[41:44], v160
	ds_load_b128 v[45:48], v160 offset:3120
	global_wb scope:SCOPE_SE
	s_wait_storecnt_dscnt 0x0
	s_barrier_signal -1
	s_barrier_wait -1
	global_inv scope:SCOPE_SE
	v_add_f64_e32 v[84:85], v[78:79], v[49:50]
	v_add_f64_e32 v[114:115], v[43:44], v[80:81]
	v_add_f64_e64 v[130:131], v[80:81], -v[82:83]
	v_add_f64_e32 v[88:89], v[82:83], v[51:52]
	v_add_f64_e32 v[100:101], v[41:42], v[57:58]
	;; [unrolled: 1-line block ×4, first 2 shown]
	v_add_f64_e64 v[102:103], v[80:81], -v[55:56]
	v_add_f64_e32 v[92:93], v[66:67], v[70:71]
	v_add_f64_e64 v[120:121], v[57:58], -v[53:54]
	v_add_f64_e32 v[96:97], v[68:69], v[72:73]
	v_add_f64_e32 v[116:117], v[45:46], v[62:63]
	;; [unrolled: 1-line block ×5, first 2 shown]
	v_add_f64_e64 v[112:113], v[82:83], -v[51:52]
	v_add_f64_e64 v[122:123], v[64:65], -v[76:77]
	;; [unrolled: 1-line block ×16, first 2 shown]
	v_fma_f64 v[84:85], v[84:85], -0.5, v[41:42]
	v_add_f64_e32 v[82:83], v[114:115], v[82:83]
	v_fma_f64 v[88:89], v[88:89], -0.5, v[43:44]
	v_fma_f64 v[41:42], v[86:87], -0.5, v[41:42]
	v_add_f64_e64 v[86:87], v[78:79], -v[49:50]
	v_fma_f64 v[43:44], v[90:91], -0.5, v[43:44]
	v_fma_f64 v[92:93], v[92:93], -0.5, v[45:46]
	v_add_f64_e64 v[90:91], v[68:69], -v[72:73]
	;; [unrolled: 3-line block ×3, first 2 shown]
	v_fma_f64 v[47:48], v[98:99], -0.5, v[47:48]
	v_add_f64_e64 v[98:99], v[57:58], -v[78:79]
	v_add_f64_e64 v[57:58], v[78:79], -v[57:58]
	v_add_f64_e32 v[78:79], v[100:101], v[78:79]
	v_add_f64_e32 v[66:67], v[116:117], v[66:67]
	;; [unrolled: 1-line block ×5, first 2 shown]
	v_fma_f64 v[100:101], v[102:103], s[10:11], v[84:85]
	v_fma_f64 v[84:85], v[102:103], s[0:1], v[84:85]
	v_add_f64_e32 v[51:52], v[82:83], v[51:52]
	v_fma_f64 v[116:117], v[120:121], s[0:1], v[88:89]
	v_fma_f64 v[88:89], v[120:121], s[10:11], v[88:89]
	v_fma_f64 v[114:115], v[112:113], s[0:1], v[41:42]
	v_fma_f64 v[41:42], v[112:113], s[10:11], v[41:42]
	v_fma_f64 v[118:119], v[86:87], s[10:11], v[43:44]
	v_fma_f64 v[43:44], v[86:87], s[0:1], v[43:44]
	v_fma_f64 v[148:149], v[122:123], s[10:11], v[92:93]
	v_fma_f64 v[152:153], v[124:125], s[0:1], v[96:97]
	v_fma_f64 v[92:93], v[122:123], s[0:1], v[92:93]
	v_fma_f64 v[150:151], v[90:91], s[0:1], v[45:46]
	v_fma_f64 v[45:46], v[90:91], s[10:11], v[45:46]
	v_fma_f64 v[154:155], v[94:95], s[10:11], v[47:48]
	v_fma_f64 v[47:48], v[94:95], s[0:1], v[47:48]
	v_fma_f64 v[96:97], v[124:125], s[10:11], v[96:97]
	v_add_f64_e32 v[49:50], v[78:79], v[49:50]
	v_add_f64_e32 v[98:99], v[98:99], v[126:127]
	;; [unrolled: 1-line block ×9, first 2 shown]
	v_fma_f64 v[68:69], v[112:113], s[16:17], v[100:101]
	s_wait_alu 0xfffe
	v_fma_f64 v[70:71], v[112:113], s[14:15], v[84:85]
	v_fma_f64 v[82:83], v[86:87], s[14:15], v[116:117]
	;; [unrolled: 1-line block ×15, first 2 shown]
	v_add_f64_e32 v[41:42], v[49:50], v[53:54]
	v_add_f64_e32 v[43:44], v[51:52], v[55:56]
	;; [unrolled: 1-line block ×4, first 2 shown]
	v_fma_f64 v[49:50], v[98:99], s[18:19], v[68:69]
	v_fma_f64 v[53:54], v[98:99], s[18:19], v[70:71]
	;; [unrolled: 1-line block ×16, first 2 shown]
	v_lshrrev_b16 v62, 14, v36
	s_delay_alu instid0(VALU_DEP_1) | instskip(SKIP_1) | instid1(VALU_DEP_2)
	v_mul_lo_u16 v36, 0x41, v62
	v_and_b32_e32 v62, 0xffff, v62
	v_sub_nc_u16 v36, v215, v36
	s_delay_alu instid0(VALU_DEP_2) | instskip(NEXT) | instid1(VALU_DEP_2)
	v_mul_u32_u24_e32 v62, 0x28a, v62
	v_and_b32_e32 v63, 0xff, v36
	v_and_b32_e32 v36, 0xffff, v37
	s_delay_alu instid0(VALU_DEP_2) | instskip(NEXT) | instid1(VALU_DEP_2)
	v_mad_co_u64_u32 v[88:89], null, 0x90, v63, s[2:3]
	v_lshlrev_b32_e32 v223, 4, v36
	ds_store_b128 v226, v[41:44]
	ds_store_b128 v226, v[49:52] offset:208
	ds_store_b128 v226, v[64:67] offset:416
	ds_store_b128 v226, v[68:71] offset:624
	ds_store_b128 v226, v[53:56] offset:832
	ds_store_b128 v223, v[45:48]
	ds_store_b128 v223, v[72:75] offset:208
	ds_store_b128 v223, v[80:83] offset:416
	;; [unrolled: 1-line block ×4, first 2 shown]
	global_wb scope:SCOPE_SE
	s_wait_dscnt 0x0
	s_barrier_signal -1
	s_barrier_wait -1
	global_inv scope:SCOPE_SE
	s_clause 0x8
	global_load_b128 v[56:59], v[88:89], off offset:864
	global_load_b128 v[72:75], v[88:89], off offset:896
	global_load_b128 v[68:71], v[88:89], off offset:928
	global_load_b128 v[76:79], v[88:89], off offset:960
	global_load_b128 v[36:39], v[88:89], off offset:832
	global_load_b128 v[52:55], v[88:89], off offset:848
	global_load_b128 v[48:51], v[88:89], off offset:880
	global_load_b128 v[44:47], v[88:89], off offset:912
	global_load_b128 v[40:43], v[88:89], off offset:944
	ds_load_b128 v[64:67], v160 offset:9360
	ds_load_b128 v[80:83], v160 offset:15600
	ds_load_b128 v[84:87], v160 offset:21840
	ds_load_b128 v[88:91], v160 offset:28080
	ds_load_b128 v[92:95], v160 offset:3120
	ds_load_b128 v[96:99], v160 offset:6240
	v_add_lshl_u32 v207, v62, v63, 4
	s_wait_loadcnt_dscnt 0x805
	v_mul_f64_e32 v[102:103], v[64:65], v[58:59]
	s_wait_loadcnt_dscnt 0x704
	v_mul_f64_e32 v[112:113], v[82:83], v[74:75]
	v_mul_f64_e32 v[114:115], v[80:81], v[74:75]
	s_wait_loadcnt_dscnt 0x603
	v_mul_f64_e32 v[116:117], v[84:85], v[70:71]
	s_wait_loadcnt_dscnt 0x502
	v_mul_f64_e32 v[118:119], v[88:89], v[78:79]
	v_mul_f64_e32 v[122:123], v[86:87], v[70:71]
	;; [unrolled: 1-line block ×4, first 2 shown]
	s_wait_loadcnt_dscnt 0x401
	v_mul_f64_e32 v[124:125], v[94:95], v[38:39]
	v_mul_f64_e32 v[126:127], v[92:93], v[38:39]
	v_fma_f64 v[102:103], v[66:67], v[56:57], v[102:103]
	v_fma_f64 v[112:113], v[80:81], v[72:73], -v[112:113]
	v_fma_f64 v[114:115], v[82:83], v[72:73], v[114:115]
	v_fma_f64 v[116:117], v[86:87], v[68:69], v[116:117]
	;; [unrolled: 1-line block ×3, first 2 shown]
	v_fma_f64 v[118:119], v[84:85], v[68:69], -v[122:123]
	v_fma_f64 v[100:101], v[64:65], v[56:57], -v[100:101]
	;; [unrolled: 1-line block ×3, first 2 shown]
	ds_load_b128 v[64:67], v160 offset:12480
	ds_load_b128 v[80:83], v160 offset:18720
	;; [unrolled: 1-line block ×3, first 2 shown]
	s_wait_loadcnt_dscnt 0x303
	v_mul_f64_e32 v[120:121], v[98:99], v[54:55]
	v_mul_f64_e32 v[122:123], v[96:97], v[54:55]
	v_fma_f64 v[92:93], v[92:93], v[36:37], -v[124:125]
	v_fma_f64 v[94:95], v[94:95], v[36:37], v[126:127]
	s_wait_loadcnt_dscnt 0x202
	v_mul_f64_e32 v[128:129], v[66:67], v[50:51]
	v_mul_f64_e32 v[130:131], v[64:65], v[50:51]
	s_wait_loadcnt_dscnt 0x101
	v_mul_f64_e32 v[132:133], v[82:83], v[46:47]
	s_wait_loadcnt_dscnt 0x0
	v_mul_f64_e32 v[134:135], v[86:87], v[42:43]
	v_mul_f64_e32 v[136:137], v[80:81], v[46:47]
	;; [unrolled: 1-line block ×3, first 2 shown]
	v_add_f64_e64 v[156:157], v[102:103], -v[114:115]
	v_add_f64_e32 v[124:125], v[114:115], v[116:117]
	v_add_f64_e32 v[126:127], v[102:103], v[90:91]
	;; [unrolled: 1-line block ×3, first 2 shown]
	v_add_f64_e64 v[148:149], v[100:101], -v[112:113]
	v_add_f64_e32 v[140:141], v[100:101], v[88:89]
	v_add_f64_e64 v[150:151], v[88:89], -v[118:119]
	v_fma_f64 v[96:97], v[96:97], v[52:53], -v[120:121]
	v_fma_f64 v[98:99], v[98:99], v[52:53], v[122:123]
	v_add_f64_e64 v[152:153], v[112:113], -v[100:101]
	v_add_f64_e64 v[154:155], v[118:119], -v[88:89]
	;; [unrolled: 1-line block ×5, first 2 shown]
	v_fma_f64 v[120:121], v[64:65], v[48:49], -v[128:129]
	v_fma_f64 v[122:123], v[66:67], v[48:49], v[130:131]
	v_fma_f64 v[80:81], v[80:81], v[44:45], -v[132:133]
	v_fma_f64 v[84:85], v[84:85], v[40:41], -v[134:135]
	v_fma_f64 v[82:83], v[82:83], v[44:45], v[136:137]
	v_fma_f64 v[86:87], v[86:87], v[40:41], v[138:139]
	v_add_f64_e64 v[128:129], v[102:103], -v[90:91]
	v_add_f64_e64 v[132:133], v[100:101], -v[88:89]
	;; [unrolled: 1-line block ×4, first 2 shown]
	ds_load_b128 v[64:67], v160
	global_wb scope:SCOPE_SE
	s_wait_dscnt 0x0
	s_barrier_signal -1
	s_barrier_wait -1
	global_inv scope:SCOPE_SE
	v_fma_f64 v[124:125], v[124:125], -0.5, v[94:95]
	v_fma_f64 v[126:127], v[126:127], -0.5, v[94:95]
	;; [unrolled: 1-line block ×3, first 2 shown]
	v_add_f64_e32 v[94:95], v[94:95], v[102:103]
	v_fma_f64 v[136:137], v[140:141], -0.5, v[92:93]
	v_add_f64_e32 v[92:93], v[92:93], v[100:101]
	v_add_f64_e32 v[173:174], v[64:65], v[96:97]
	v_add_f64_e32 v[179:180], v[66:67], v[98:99]
	v_add_f64_e32 v[140:141], v[120:121], v[80:81]
	v_add_f64_e32 v[142:143], v[96:97], v[84:85]
	v_add_f64_e32 v[144:145], v[122:123], v[82:83]
	v_add_f64_e32 v[146:147], v[98:99], v[86:87]
	v_add_f64_e64 v[175:176], v[98:99], -v[86:87]
	v_add_f64_e64 v[181:182], v[96:97], -v[84:85]
	;; [unrolled: 1-line block ×4, first 2 shown]
	v_fma_f64 v[165:166], v[132:133], s[0:1], v[124:125]
	v_fma_f64 v[167:168], v[134:135], s[10:11], v[126:127]
	;; [unrolled: 1-line block ×8, first 2 shown]
	v_add_f64_e32 v[92:93], v[92:93], v[112:113]
	v_add_f64_e32 v[94:95], v[94:95], v[114:115]
	v_fma_f64 v[100:101], v[140:141], -0.5, v[64:65]
	v_fma_f64 v[64:65], v[142:143], -0.5, v[64:65]
	v_fma_f64 v[102:103], v[144:145], -0.5, v[66:67]
	v_fma_f64 v[66:67], v[146:147], -0.5, v[66:67]
	v_add_f64_e32 v[140:141], v[148:149], v[150:151]
	v_add_f64_e32 v[142:143], v[152:153], v[154:155]
	;; [unrolled: 1-line block ×4, first 2 shown]
	v_add_f64_e64 v[156:157], v[86:87], -v[82:83]
	v_add_f64_e64 v[158:159], v[82:83], -v[86:87]
	v_fma_f64 v[148:149], v[134:135], s[14:15], v[165:166]
	v_fma_f64 v[150:151], v[132:133], s[14:15], v[167:168]
	;; [unrolled: 1-line block ×8, first 2 shown]
	v_add_f64_e64 v[132:133], v[96:97], -v[120:121]
	v_add_f64_e64 v[96:97], v[120:121], -v[96:97]
	;; [unrolled: 1-line block ×4, first 2 shown]
	v_add_f64_e32 v[120:121], v[173:174], v[120:121]
	v_add_f64_e32 v[122:123], v[179:180], v[122:123]
	v_add_f64_e64 v[134:135], v[84:85], -v[80:81]
	v_add_f64_e64 v[136:137], v[80:81], -v[84:85]
	v_add_f64_e32 v[92:93], v[92:93], v[118:119]
	v_add_f64_e32 v[94:95], v[94:95], v[116:117]
	v_fma_f64 v[112:113], v[175:176], s[10:11], v[100:101]
	v_fma_f64 v[100:101], v[175:176], s[0:1], v[100:101]
	;; [unrolled: 1-line block ×16, first 2 shown]
	v_add_f64_e32 v[98:99], v[98:99], v[158:159]
	v_add_f64_e32 v[80:81], v[120:121], v[80:81]
	;; [unrolled: 1-line block ×6, first 2 shown]
	v_fma_f64 v[112:113], v[177:178], s[16:17], v[112:113]
	v_fma_f64 v[100:101], v[177:178], s[14:15], v[100:101]
	;; [unrolled: 1-line block ×8, first 2 shown]
	v_mul_f64_e32 v[120:121], s[16:17], v[148:149]
	v_mul_f64_e32 v[122:123], s[10:11], v[150:151]
	;; [unrolled: 1-line block ×8, first 2 shown]
	v_add_f64_e32 v[80:81], v[80:81], v[84:85]
	v_add_f64_e32 v[82:83], v[82:83], v[86:87]
	;; [unrolled: 1-line block ×4, first 2 shown]
	v_fma_f64 v[112:113], v[132:133], s[18:19], v[112:113]
	v_fma_f64 v[132:133], v[132:133], s[18:19], v[100:101]
	;; [unrolled: 1-line block ×10, first 2 shown]
	v_fma_f64 v[122:123], v[124:125], s[16:17], -v[138:139]
	v_fma_f64 v[124:125], v[148:149], s[20:21], v[140:141]
	v_fma_f64 v[120:121], v[126:127], s[10:11], -v[136:137]
	v_fma_f64 v[126:127], v[150:151], s[18:19], v[142:143]
	v_fma_f64 v[128:129], v[152:153], s[0:1], -v[144:145]
	v_fma_f64 v[130:131], v[154:155], s[14:15], -v[146:147]
	v_cmp_gt_u16_e64 s0, 0x41, v215
	v_add_f64_e32 v[64:65], v[80:81], v[84:85]
	v_add_f64_e32 v[66:67], v[82:83], v[86:87]
	v_add_f64_e64 v[80:81], v[80:81], -v[84:85]
	v_add_f64_e64 v[82:83], v[82:83], -v[86:87]
	v_add_f64_e32 v[84:85], v[112:113], v[100:101]
	v_add_f64_e32 v[88:89], v[114:115], v[102:103]
	;; [unrolled: 1-line block ×8, first 2 shown]
	v_add_f64_e64 v[100:101], v[112:113], -v[100:101]
	v_add_f64_e64 v[116:117], v[114:115], -v[102:103]
	;; [unrolled: 1-line block ×8, first 2 shown]
	ds_store_b128 v207, v[64:67]
	ds_store_b128 v207, v[84:87] offset:1040
	ds_store_b128 v207, v[88:91] offset:2080
	;; [unrolled: 1-line block ×9, first 2 shown]
	global_wb scope:SCOPE_SE
	s_wait_dscnt 0x0
	s_barrier_signal -1
	s_barrier_wait -1
	global_inv scope:SCOPE_SE
	ds_load_b128 v[120:123], v160
	ds_load_b128 v[116:119], v160 offset:3120
	ds_load_b128 v[136:139], v160 offset:20800
	;; [unrolled: 1-line block ×8, first 2 shown]
	s_and_saveexec_b32 s1, s0
	s_cbranch_execz .LBB0_9
; %bb.8:
	ds_load_b128 v[112:115], v160 offset:9360
	ds_load_b128 v[104:107], v160 offset:19760
	;; [unrolled: 1-line block ×3, first 2 shown]
.LBB0_9:
	s_wait_alu 0xfffe
	s_or_b32 exec_lo, exec_lo, s1
	v_add_co_u32 v62, s1, 0x249, v215
	s_wait_alu 0xf1ff
	v_add_co_ci_u32_e64 v63, null, 0, 0, s1
	v_add_co_u32 v64, s1, 0xffffffbf, v215
	s_wait_alu 0xf1ff
	v_add_co_ci_u32_e64 v65, null, 0, -1, s1
	v_lshlrev_b64_e32 v[60:61], 5, v[60:61]
	s_delay_alu instid0(VALU_DEP_3) | instskip(SKIP_1) | instid1(VALU_DEP_4)
	v_cndmask_b32_e64 v62, v64, v62, s0
	v_lshlrev_b32_e32 v66, 5, v215
	v_cndmask_b32_e64 v63, v65, v63, s0
	s_mov_b32 s11, 0xbfebb67a
	s_delay_alu instid0(VALU_DEP_4) | instskip(NEXT) | instid1(VALU_DEP_2)
	v_add_co_u32 v60, s1, s2, v60
	v_lshlrev_b64_e32 v[62:63], 5, v[62:63]
	s_wait_alu 0xf1ff
	v_add_co_ci_u32_e64 v61, s1, s3, v61, s1
	v_add_nc_u32_e32 v64, 0x30c0, v66
	s_clause 0x4
	global_load_b128 v[88:91], v66, s[2:3] offset:10192
	global_load_b128 v[96:99], v66, s[2:3] offset:10208
	global_load_b128 v[92:95], v[60:61], off offset:10192
	global_load_b128 v[80:83], v64, s[2:3] offset:10208
	global_load_b128 v[84:87], v64, s[2:3] offset:10192
	v_add_co_u32 v62, s1, s2, v62
	s_wait_alu 0xf1ff
	v_add_co_ci_u32_e64 v63, s1, s3, v63, s1
	s_clause 0x2
	global_load_b128 v[100:103], v[60:61], off offset:10208
	global_load_b128 v[64:67], v[62:63], off offset:10192
	global_load_b128 v[60:63], v[62:63], off offset:10208
	s_mov_b32 s2, 0xe8584caa
	s_mov_b32 s3, 0x3febb67a
	s_wait_alu 0xfffe
	s_mov_b32 s10, s2
	s_wait_loadcnt_dscnt 0x606
	v_mul_f64_e32 v[156:157], v[138:139], v[98:99]
	s_wait_dscnt 0x4
	v_mul_f64_e32 v[152:153], v[150:151], v[90:91]
	v_mul_f64_e32 v[154:155], v[148:149], v[90:91]
	;; [unrolled: 1-line block ×3, first 2 shown]
	s_wait_loadcnt_dscnt 0x301
	v_mul_f64_e32 v[161:162], v[146:147], v[86:87]
	v_mul_f64_e32 v[163:164], v[144:145], v[86:87]
	s_wait_dscnt 0x0
	v_mul_f64_e32 v[165:166], v[142:143], v[82:83]
	v_mul_f64_e32 v[167:168], v[140:141], v[82:83]
	;; [unrolled: 1-line block ×4, first 2 shown]
	s_wait_loadcnt 0x2
	v_mul_f64_e32 v[173:174], v[130:131], v[102:103]
	v_mul_f64_e32 v[175:176], v[128:129], v[102:103]
	s_wait_loadcnt 0x1
	v_mul_f64_e32 v[177:178], v[106:107], v[66:67]
	s_wait_loadcnt 0x0
	v_mul_f64_e32 v[179:180], v[110:111], v[62:63]
	v_mul_f64_e32 v[181:182], v[104:105], v[66:67]
	;; [unrolled: 1-line block ×3, first 2 shown]
	v_fma_f64 v[136:137], v[136:137], v[96:97], -v[156:157]
	v_fma_f64 v[148:149], v[148:149], v[88:89], -v[152:153]
	v_fma_f64 v[150:151], v[150:151], v[88:89], v[154:155]
	v_fma_f64 v[138:139], v[138:139], v[96:97], v[158:159]
	v_fma_f64 v[144:145], v[144:145], v[84:85], -v[161:162]
	v_fma_f64 v[146:147], v[146:147], v[84:85], v[163:164]
	v_fma_f64 v[140:141], v[140:141], v[80:81], -v[165:166]
	;; [unrolled: 2-line block ×5, first 2 shown]
	v_fma_f64 v[108:109], v[108:109], v[60:61], -v[179:180]
	v_fma_f64 v[106:107], v[106:107], v[64:65], v[181:182]
	v_fma_f64 v[110:111], v[110:111], v[60:61], v[183:184]
	v_add_f64_e32 v[169:170], v[120:121], v[148:149]
	v_add_f64_e32 v[152:153], v[148:149], v[136:137]
	;; [unrolled: 1-line block ×3, first 2 shown]
	v_add_f64_e64 v[171:172], v[150:151], -v[138:139]
	v_add_f64_e32 v[150:151], v[122:123], v[150:151]
	v_add_f64_e32 v[156:157], v[144:145], v[140:141]
	v_add_f64_e32 v[158:159], v[146:147], v[142:143]
	v_add_f64_e64 v[173:174], v[148:149], -v[136:137]
	v_add_f64_e32 v[148:149], v[124:125], v[144:145]
	v_add_f64_e32 v[161:162], v[132:133], v[128:129]
	;; [unrolled: 1-line block ×10, first 2 shown]
	v_add_f64_e64 v[146:147], v[146:147], -v[142:143]
	v_add_f64_e64 v[144:145], v[144:145], -v[140:141]
	;; [unrolled: 1-line block ×6, first 2 shown]
	v_fma_f64 v[120:121], v[152:153], -0.5, v[120:121]
	v_fma_f64 v[122:123], v[154:155], -0.5, v[122:123]
	;; [unrolled: 1-line block ×7, first 2 shown]
	v_add_f64_e32 v[112:113], v[169:170], v[136:137]
	v_fma_f64 v[163:164], v[167:168], -0.5, v[114:115]
	v_add_f64_e32 v[114:115], v[150:151], v[138:139]
	v_add_f64_e32 v[136:137], v[148:149], v[140:141]
	v_add_f64_e32 v[138:139], v[175:176], v[142:143]
	v_add_f64_e32 v[152:153], v[177:178], v[128:129]
	v_add_f64_e32 v[154:155], v[179:180], v[130:131]
	v_add_f64_e32 v[124:125], v[181:182], v[108:109]
	v_add_f64_e32 v[126:127], v[183:184], v[110:111]
	v_fma_f64 v[140:141], v[171:172], s[2:3], v[120:121]
	s_wait_alu 0xfffe
	v_fma_f64 v[148:149], v[171:172], s[10:11], v[120:121]
	v_fma_f64 v[142:143], v[173:174], s[10:11], v[122:123]
	;; [unrolled: 1-line block ×15, first 2 shown]
	ds_store_b128 v160, v[112:115]
	ds_store_b128 v160, v[152:155] offset:3120
	ds_store_b128 v160, v[148:151] offset:20800
	ds_store_b128 v160, v[144:147] offset:23920
	ds_store_b128 v160, v[140:143] offset:10400
	ds_store_b128 v160, v[136:139] offset:6240
	ds_store_b128 v160, v[156:159] offset:13520
	ds_store_b128 v160, v[132:135] offset:16640
	ds_store_b128 v160, v[128:131] offset:27040
	s_and_saveexec_b32 s1, s0
	s_cbranch_execz .LBB0_11
; %bb.10:
	ds_store_b128 v160, v[124:127] offset:9360
	ds_store_b128 v160, v[120:123] offset:19760
	;; [unrolled: 1-line block ×3, first 2 shown]
.LBB0_11:
	s_wait_alu 0xfffe
	s_or_b32 exec_lo, exec_lo, s1
	global_wb scope:SCOPE_SE
	s_wait_dscnt 0x0
	s_barrier_signal -1
	s_barrier_wait -1
	global_inv scope:SCOPE_SE
	s_and_saveexec_b32 s1, vcc_lo
	s_cbranch_execz .LBB0_13
; %bb.12:
	global_load_b128 v[104:107], v255, s[8:9] offset:31200
	s_add_nc_u64 s[2:3], s[8:9], 0x79e0
	s_clause 0x6
	global_load_b128 v[108:111], v255, s[2:3] offset:2400
	global_load_b128 v[161:164], v255, s[2:3] offset:4800
	global_load_b128 v[165:168], v255, s[2:3] offset:7200
	global_load_b128 v[169:172], v255, s[2:3] offset:9600
	global_load_b128 v[173:176], v255, s[2:3] offset:12000
	global_load_b128 v[181:184], v255, s[2:3] offset:14400
	global_load_b128 v[185:188], v255, s[2:3] offset:16800
	ds_load_b128 v[177:180], v160
	s_wait_loadcnt_dscnt 0x700
	v_mul_f64_e32 v[189:190], v[179:180], v[106:107]
	v_mul_f64_e32 v[106:107], v[177:178], v[106:107]
	s_delay_alu instid0(VALU_DEP_2) | instskip(NEXT) | instid1(VALU_DEP_2)
	v_fma_f64 v[177:178], v[177:178], v[104:105], -v[189:190]
	v_fma_f64 v[179:180], v[179:180], v[104:105], v[106:107]
	ds_store_b128 v160, v[177:180]
	ds_load_b128 v[104:107], v255 offset:2400
	ds_load_b128 v[177:180], v255 offset:4800
	s_wait_loadcnt_dscnt 0x601
	v_mul_f64_e32 v[189:190], v[106:107], v[110:111]
	v_mul_f64_e32 v[110:111], v[104:105], v[110:111]
	s_delay_alu instid0(VALU_DEP_2) | instskip(SKIP_3) | instid1(VALU_DEP_4)
	v_fma_f64 v[104:105], v[104:105], v[108:109], -v[189:190]
	s_wait_loadcnt_dscnt 0x500
	v_mul_f64_e32 v[189:190], v[179:180], v[163:164]
	v_mul_f64_e32 v[163:164], v[177:178], v[163:164]
	v_fma_f64 v[106:107], v[106:107], v[108:109], v[110:111]
	ds_load_b128 v[108:111], v255 offset:7200
	v_fma_f64 v[177:178], v[177:178], v[161:162], -v[189:190]
	v_fma_f64 v[179:180], v[179:180], v[161:162], v[163:164]
	ds_load_b128 v[161:164], v255 offset:9600
	s_wait_loadcnt_dscnt 0x401
	v_mul_f64_e32 v[189:190], v[110:111], v[167:168]
	v_mul_f64_e32 v[167:168], v[108:109], v[167:168]
	s_delay_alu instid0(VALU_DEP_2) | instskip(SKIP_3) | instid1(VALU_DEP_4)
	v_fma_f64 v[108:109], v[108:109], v[165:166], -v[189:190]
	s_wait_loadcnt_dscnt 0x300
	v_mul_f64_e32 v[189:190], v[163:164], v[171:172]
	v_mul_f64_e32 v[171:172], v[161:162], v[171:172]
	v_fma_f64 v[110:111], v[110:111], v[165:166], v[167:168]
	ds_load_b128 v[165:168], v255 offset:12000
	v_fma_f64 v[161:162], v[161:162], v[169:170], -v[189:190]
	v_fma_f64 v[163:164], v[163:164], v[169:170], v[171:172]
	;; [unrolled: 13-line block ×3, first 2 shown]
	ds_load_b128 v[181:184], v255 offset:19200
	s_wait_loadcnt_dscnt 0x1
	v_mul_f64_e32 v[189:190], v[175:176], v[187:188]
	v_mul_f64_e32 v[187:188], v[173:174], v[187:188]
	s_delay_alu instid0(VALU_DEP_2) | instskip(NEXT) | instid1(VALU_DEP_2)
	v_fma_f64 v[173:174], v[173:174], v[185:186], -v[189:190]
	v_fma_f64 v[175:176], v[175:176], v[185:186], v[187:188]
	s_clause 0x1
	global_load_b128 v[185:188], v255, s[2:3] offset:19200
	global_load_b128 v[189:192], v255, s[2:3] offset:21600
	s_wait_loadcnt_dscnt 0x100
	v_mul_f64_e32 v[193:194], v[183:184], v[187:188]
	v_mul_f64_e32 v[187:188], v[181:182], v[187:188]
	s_delay_alu instid0(VALU_DEP_2) | instskip(NEXT) | instid1(VALU_DEP_2)
	v_fma_f64 v[181:182], v[181:182], v[185:186], -v[193:194]
	v_fma_f64 v[183:184], v[183:184], v[185:186], v[187:188]
	ds_load_b128 v[185:188], v255 offset:21600
	ds_load_b128 v[193:196], v255 offset:24000
	s_wait_loadcnt_dscnt 0x1
	v_mul_f64_e32 v[197:198], v[187:188], v[191:192]
	v_mul_f64_e32 v[191:192], v[185:186], v[191:192]
	s_delay_alu instid0(VALU_DEP_2) | instskip(NEXT) | instid1(VALU_DEP_2)
	v_fma_f64 v[185:186], v[185:186], v[189:190], -v[197:198]
	v_fma_f64 v[187:188], v[187:188], v[189:190], v[191:192]
	s_clause 0x1
	global_load_b128 v[189:192], v255, s[2:3] offset:24000
	global_load_b128 v[197:200], v255, s[2:3] offset:26400
	s_wait_loadcnt_dscnt 0x100
	v_mul_f64_e32 v[201:202], v[195:196], v[191:192]
	v_mul_f64_e32 v[203:204], v[193:194], v[191:192]
	s_delay_alu instid0(VALU_DEP_2) | instskip(NEXT) | instid1(VALU_DEP_2)
	v_fma_f64 v[191:192], v[193:194], v[189:190], -v[201:202]
	v_fma_f64 v[193:194], v[195:196], v[189:190], v[203:204]
	ds_load_b128 v[201:204], v255 offset:26400
	ds_load_b128 v[210:213], v255 offset:28800
	s_wait_loadcnt_dscnt 0x1
	v_mul_f64_e32 v[189:190], v[203:204], v[199:200]
	v_mul_f64_e32 v[199:200], v[201:202], v[199:200]
	s_delay_alu instid0(VALU_DEP_2) | instskip(NEXT) | instid1(VALU_DEP_2)
	v_fma_f64 v[195:196], v[201:202], v[197:198], -v[189:190]
	v_fma_f64 v[197:198], v[203:204], v[197:198], v[199:200]
	global_load_b128 v[199:202], v255, s[2:3] offset:28800
	s_wait_loadcnt_dscnt 0x0
	v_mul_f64_e32 v[189:190], v[212:213], v[201:202]
	v_mul_f64_e32 v[203:204], v[210:211], v[201:202]
	s_delay_alu instid0(VALU_DEP_2) | instskip(NEXT) | instid1(VALU_DEP_2)
	v_fma_f64 v[201:202], v[210:211], v[199:200], -v[189:190]
	v_fma_f64 v[203:204], v[212:213], v[199:200], v[203:204]
	ds_store_b128 v255, v[104:107] offset:2400
	ds_store_b128 v255, v[177:180] offset:4800
	;; [unrolled: 1-line block ×12, first 2 shown]
.LBB0_13:
	s_wait_alu 0xfffe
	s_or_b32 exec_lo, exec_lo, s1
	global_wb scope:SCOPE_SE
	s_wait_dscnt 0x0
	s_barrier_signal -1
	s_barrier_wait -1
	global_inv scope:SCOPE_SE
	s_and_saveexec_b32 s1, vcc_lo
	s_cbranch_execz .LBB0_15
; %bb.14:
	ds_load_b128 v[112:115], v160
	ds_load_b128 v[140:143], v160 offset:2400
	ds_load_b128 v[148:151], v160 offset:4800
	;; [unrolled: 1-line block ×12, first 2 shown]
.LBB0_15:
	s_wait_alu 0xfffe
	s_or_b32 exec_lo, exec_lo, s1
	s_wait_dscnt 0x0
	v_add_f64_e64 v[205:206], v[142:143], -v[2:3]
	s_mov_b32 s10, 0x42a4c3d2
	s_mov_b32 s11, 0xbfea55e2
	v_add_f64_e32 v[203:204], v[140:141], v[0:1]
	v_add_f64_e64 v[163:164], v[150:151], -v[118:119]
	s_mov_b32 s2, 0x1ea71119
	s_mov_b32 s16, 0x2ef20147
	s_mov_b32 s3, 0x3fe22d96
	s_mov_b32 s17, 0xbfedeba7
	v_add_f64_e32 v[161:162], v[148:149], v[116:117]
	v_add_f64_e32 v[247:248], v[142:143], v[2:3]
	s_mov_b32 s14, 0xb2365da1
	s_mov_b32 s15, 0xbfd6b1d8
	v_add_f64_e64 v[249:250], v[140:141], -v[0:1]
	v_add_f64_e32 v[165:166], v[150:151], v[118:119]
	v_add_f64_e64 v[171:172], v[148:149], -v[116:117]
	v_add_f64_e64 v[169:170], v[154:155], -v[122:123]
	s_mov_b32 s20, 0x4bc48dbf
	s_mov_b32 s21, 0xbfcea1e5
	v_add_f64_e32 v[167:168], v[152:153], v[120:121]
	v_add_f64_e32 v[173:174], v[154:155], v[122:123]
	s_mov_b32 s18, 0x93053d00
	s_mov_b32 s19, 0xbfef11f4
	v_add_f64_e64 v[179:180], v[152:153], -v[120:121]
	v_add_f64_e64 v[177:178], v[158:159], -v[126:127]
	s_mov_b32 s28, 0x24c2f84
	s_mov_b32 s29, 0x3fe5384d
	v_add_f64_e32 v[175:176], v[156:157], v[124:125]
	v_add_f64_e32 v[181:182], v[158:159], v[126:127]
	s_mov_b32 s22, 0xd0032e0c
	s_mov_b32 s23, 0xbfe7f3cc
	v_add_f64_e64 v[193:194], v[156:157], -v[124:125]
	v_add_f64_e64 v[191:192], v[146:147], -v[130:131]
	s_mov_b32 s26, 0x66966769
	s_mov_b32 s27, 0xbfefc445
	;; [unrolled: 1-line block ×3, first 2 shown]
	s_wait_alu 0xfffe
	s_mov_b32 s36, s26
	v_add_f64_e32 v[185:186], v[144:145], v[128:129]
	v_mul_f64_e32 v[229:230], s[10:11], v[205:206]
	v_add_f64_e32 v[187:188], v[146:147], v[130:131]
	s_mov_b32 s24, 0xebaa3ed8
	s_mov_b32 s25, 0x3fbedb7d
	v_mul_f64_e32 v[212:213], s[16:17], v[163:164]
	v_add_f64_e64 v[197:198], v[144:145], -v[128:129]
	v_add_f64_e64 v[199:200], v[138:139], -v[134:135]
	s_mov_b32 s41, 0x3fddbe06
	s_mov_b32 s40, 0x4267c47c
	v_add_f64_e32 v[189:190], v[136:137], v[132:133]
	v_mul_f64_e32 v[251:252], s[2:3], v[247:248]
	s_mov_b32 s30, 0xe00740e9
	s_mov_b32 s31, 0x3fec55a7
	v_add_f64_e32 v[195:196], v[138:139], v[134:135]
	v_mul_f64_e32 v[108:109], s[14:15], v[165:166]
	v_add_f64_e64 v[201:202], v[136:137], -v[132:133]
	v_mul_f64_e32 v[253:254], s[26:27], v[205:206]
	v_mul_f64_e32 v[210:211], s[18:19], v[165:166]
	;; [unrolled: 1-line block ×3, first 2 shown]
	s_wait_alu 0xfffe
	v_mul_f64_e32 v[183:184], s[24:25], v[247:248]
	v_mul_f64_e32 v[224:225], s[18:19], v[173:174]
	s_mov_b32 s39, 0x3fedeba7
	s_mov_b32 s38, s16
	v_mul_f64_e32 v[4:5], s[14:15], v[173:174]
	v_mul_f64_e32 v[220:221], s[28:29], v[177:178]
	s_wait_alu 0xfffe
	v_mul_f64_e32 v[208:209], s[38:39], v[169:170]
	s_mov_b32 s35, 0xbfe5384d
	s_mov_b32 s34, s28
	v_mul_f64_e32 v[218:219], s[22:23], v[181:182]
	v_mul_f64_e32 v[6:7], s[30:31], v[181:182]
	v_mul_f64_e32 v[216:217], s[36:37], v[191:192]
	v_mul_f64_e32 v[227:228], s[10:11], v[191:192]
	v_fma_f64 v[104:105], v[203:204], s[2:3], -v[229:230]
	v_mul_f64_e32 v[243:244], s[24:25], v[187:188]
	v_mul_f64_e32 v[10:11], s[2:3], v[187:188]
	v_fma_f64 v[106:107], v[161:162], s[14:15], -v[212:213]
	v_mul_f64_e32 v[239:240], s[40:41], v[199:200]
	s_wait_alu 0xfffe
	v_mul_f64_e32 v[12:13], s[34:35], v[199:200]
	v_mul_f64_e32 v[8:9], s[22:23], v[195:196]
	scratch_store_b64 off, v[108:109], off offset:68 ; 8-byte Folded Spill
	v_fma_f64 v[108:109], v[171:172], s[16:17], v[108:109]
	v_fma_f64 v[231:232], v[171:172], s[20:21], v[210:211]
	v_fma_f64 v[110:111], v[161:162], s[18:19], -v[241:242]
	scratch_store_b64 off, v[210:211], off offset:52 ; 8-byte Folded Spill
	v_fma_f64 v[233:234], v[167:168], s[14:15], -v[208:209]
	v_fma_f64 v[237:238], v[185:186], s[2:3], -v[227:228]
	v_add_f64_e32 v[104:105], v[112:113], v[104:105]
	v_fma_f64 v[245:246], v[189:190], s[22:23], -v[12:13]
	v_fma_f64 v[210:211], v[201:202], s[34:35], v[8:9]
	s_delay_alu instid0(VALU_DEP_3) | instskip(SKIP_1) | instid1(VALU_DEP_1)
	v_add_f64_e32 v[104:105], v[106:107], v[104:105]
	v_fma_f64 v[106:107], v[249:250], s[10:11], v[251:252]
	v_add_f64_e32 v[106:107], v[114:115], v[106:107]
	s_delay_alu instid0(VALU_DEP_1) | instskip(SKIP_3) | instid1(VALU_DEP_1)
	v_add_f64_e32 v[106:107], v[108:109], v[106:107]
	v_mul_f64_e32 v[108:109], s[20:21], v[169:170]
	scratch_store_b64 off, v[108:109], off offset:76 ; 8-byte Folded Spill
	v_fma_f64 v[108:109], v[167:168], s[18:19], -v[108:109]
	v_add_f64_e32 v[104:105], v[108:109], v[104:105]
	v_fma_f64 v[108:109], v[179:180], s[20:21], v[224:225]
	s_delay_alu instid0(VALU_DEP_1) | instskip(SKIP_1) | instid1(VALU_DEP_1)
	v_add_f64_e32 v[106:107], v[108:109], v[106:107]
	v_fma_f64 v[108:109], v[175:176], s[22:23], -v[220:221]
	v_add_f64_e32 v[104:105], v[108:109], v[104:105]
	v_fma_f64 v[108:109], v[193:194], s[28:29], v[218:219]
	s_delay_alu instid0(VALU_DEP_1) | instskip(SKIP_1) | instid1(VALU_DEP_1)
	v_add_f64_e32 v[106:107], v[108:109], v[106:107]
	;; [unrolled: 5-line block ×3, first 2 shown]
	v_fma_f64 v[108:109], v[189:190], s[30:31], -v[239:240]
	v_add_f64_e32 v[104:105], v[108:109], v[104:105]
	v_mul_f64_e32 v[108:109], s[30:31], v[195:196]
	scratch_store_b64 off, v[108:109], off offset:60 ; 8-byte Folded Spill
	v_fma_f64 v[108:109], v[201:202], s[40:41], v[108:109]
	global_wb scope:SCOPE_SE
	s_wait_storecnt 0x0
	s_barrier_signal -1
	s_barrier_wait -1
	global_inv scope:SCOPE_SE
	v_add_f64_e32 v[106:107], v[108:109], v[106:107]
	v_fma_f64 v[108:109], v[203:204], s[24:25], -v[253:254]
	s_delay_alu instid0(VALU_DEP_1) | instskip(NEXT) | instid1(VALU_DEP_1)
	v_add_f64_e32 v[108:109], v[112:113], v[108:109]
	v_add_f64_e32 v[108:109], v[110:111], v[108:109]
	v_fma_f64 v[110:111], v[249:250], s[26:27], v[183:184]
	s_delay_alu instid0(VALU_DEP_2) | instskip(NEXT) | instid1(VALU_DEP_2)
	v_add_f64_e32 v[108:109], v[233:234], v[108:109]
	v_add_f64_e32 v[110:111], v[114:115], v[110:111]
	v_fma_f64 v[233:234], v[179:180], s[38:39], v[4:5]
	s_delay_alu instid0(VALU_DEP_2) | instskip(NEXT) | instid1(VALU_DEP_1)
	v_add_f64_e32 v[110:111], v[231:232], v[110:111]
	v_add_f64_e32 v[110:111], v[233:234], v[110:111]
	v_mul_f64_e32 v[232:233], s[40:41], v[177:178]
	s_delay_alu instid0(VALU_DEP_1) | instskip(NEXT) | instid1(VALU_DEP_1)
	v_fma_f64 v[235:236], v[175:176], s[30:31], -v[232:233]
	v_add_f64_e32 v[108:109], v[235:236], v[108:109]
	v_fma_f64 v[235:236], v[193:194], s[40:41], v[6:7]
	s_delay_alu instid0(VALU_DEP_2) | instskip(NEXT) | instid1(VALU_DEP_2)
	v_add_f64_e32 v[108:109], v[237:238], v[108:109]
	v_add_f64_e32 v[110:111], v[235:236], v[110:111]
	v_fma_f64 v[237:238], v[197:198], s[10:11], v[10:11]
	s_delay_alu instid0(VALU_DEP_3) | instskip(NEXT) | instid1(VALU_DEP_2)
	v_add_f64_e32 v[108:109], v[245:246], v[108:109]
	v_add_f64_e32 v[110:111], v[237:238], v[110:111]
	s_delay_alu instid0(VALU_DEP_1)
	v_add_f64_e32 v[110:111], v[210:211], v[110:111]
	s_and_saveexec_b32 s1, vcc_lo
	s_cbranch_execz .LBB0_17
; %bb.16:
	v_add_f64_e32 v[140:141], v[112:113], v[140:141]
	v_add_f64_e32 v[142:143], v[114:115], v[142:143]
	v_dual_mov_b32 v246, v242 :: v_dual_mov_b32 v245, v241
	v_dual_mov_b32 v242, v240 :: v_dual_mov_b32 v241, v239
	;; [unrolled: 1-line block ×3, first 2 shown]
	v_mul_f64_e32 v[218:219], s[36:37], v[201:202]
	s_mov_b32 s43, 0x3fcea1e5
	s_mov_b32 s42, s20
	v_dual_mov_b32 v238, v217 :: v_dual_mov_b32 v237, v216
	v_add_f64_e32 v[140:141], v[140:141], v[148:149]
	v_add_f64_e32 v[142:143], v[142:143], v[150:151]
	s_delay_alu instid0(VALU_DEP_2) | instskip(NEXT) | instid1(VALU_DEP_2)
	v_add_f64_e32 v[140:141], v[140:141], v[152:153]
	v_add_f64_e32 v[142:143], v[142:143], v[154:155]
	s_delay_alu instid0(VALU_DEP_2) | instskip(NEXT) | instid1(VALU_DEP_2)
	v_add_f64_e32 v[140:141], v[140:141], v[156:157]
	v_add_f64_e32 v[142:143], v[142:143], v[158:159]
	v_mul_f64_e32 v[156:157], s[20:21], v[205:206]
	v_mul_f64_e32 v[158:159], s[34:35], v[205:206]
	s_delay_alu instid0(VALU_DEP_4) | instskip(NEXT) | instid1(VALU_DEP_4)
	v_add_f64_e32 v[140:141], v[140:141], v[144:145]
	v_add_f64_e32 v[142:143], v[142:143], v[146:147]
	v_mul_f64_e32 v[144:145], s[16:17], v[249:250]
	v_fma_f64 v[210:211], v[203:204], s[18:19], -v[156:157]
	v_fma_f64 v[156:157], v[203:204], s[18:19], v[156:157]
	v_add_f64_e32 v[136:137], v[140:141], v[136:137]
	v_add_f64_e32 v[138:139], v[142:143], v[138:139]
	v_mul_f64_e32 v[140:141], s[40:41], v[179:180]
	v_mul_f64_e32 v[142:143], s[40:41], v[169:170]
	v_fma_f64 v[152:153], v[247:248], s[14:15], v[144:145]
	v_fma_f64 v[144:145], v[247:248], s[14:15], -v[144:145]
	v_add_f64_e32 v[156:157], v[112:113], v[156:157]
	v_add_f64_e32 v[132:133], v[136:137], v[132:133]
	;; [unrolled: 1-line block ×3, first 2 shown]
	v_mul_f64_e32 v[136:137], s[20:21], v[249:250]
	v_mul_f64_e32 v[138:139], s[34:35], v[249:250]
	v_add_f64_e32 v[152:153], v[114:115], v[152:153]
	v_add_f64_e32 v[144:145], v[114:115], v[144:145]
	;; [unrolled: 1-line block ×4, first 2 shown]
	v_mul_f64_e32 v[132:133], s[40:41], v[193:194]
	v_mul_f64_e32 v[134:135], s[40:41], v[191:192]
	v_fma_f64 v[148:149], v[247:248], s[18:19], v[136:137]
	v_fma_f64 v[136:137], v[247:248], s[18:19], -v[136:137]
	v_fma_f64 v[150:151], v[247:248], s[22:23], v[138:139]
	v_fma_f64 v[138:139], v[247:248], s[22:23], -v[138:139]
	v_add_f64_e32 v[124:125], v[128:129], v[124:125]
	v_add_f64_e32 v[126:127], v[130:131], v[126:127]
	v_mul_f64_e32 v[128:129], s[40:41], v[201:202]
	v_mul_f64_e32 v[130:131], s[40:41], v[197:198]
	v_add_f64_e32 v[148:149], v[114:115], v[148:149]
	v_add_f64_e32 v[136:137], v[114:115], v[136:137]
	;; [unrolled: 1-line block ×4, first 2 shown]
	v_add_f64_e64 v[132:133], v[6:7], -v[132:133]
	v_add_f64_e32 v[120:121], v[124:125], v[120:121]
	v_add_f64_e32 v[122:123], v[126:127], v[122:123]
	v_mul_f64_e32 v[124:125], s[40:41], v[171:172]
	v_mul_f64_e32 v[126:127], s[40:41], v[163:164]
	s_mov_b32 s41, 0xbfddbe06
	s_wait_alu 0xfffe
	v_mul_f64_e32 v[146:147], s[40:41], v[249:250]
	v_add_f64_e32 v[116:117], v[120:121], v[116:117]
	v_add_f64_e32 v[118:119], v[122:123], v[118:119]
	v_mul_f64_e32 v[120:121], s[10:11], v[249:250]
	v_mul_f64_e32 v[122:123], s[2:3], v[203:204]
	v_fma_f64 v[154:155], v[247:248], s[30:31], v[146:147]
	v_fma_f64 v[146:147], v[247:248], s[30:31], -v[146:147]
	v_fma_f64 v[247:248], v[203:204], s[22:23], -v[158:159]
	v_fma_f64 v[158:159], v[203:204], s[22:23], v[158:159]
	v_add_f64_e32 v[0:1], v[116:117], v[0:1]
	v_mul_f64_e32 v[116:117], s[26:27], v[249:250]
	v_add_f64_e32 v[2:3], v[118:119], v[2:3]
	v_mul_f64_e32 v[118:119], s[24:25], v[203:204]
	v_add_f64_e64 v[120:121], v[251:252], -v[120:121]
	v_add_f64_e32 v[122:123], v[122:123], v[229:230]
	v_dual_mov_b32 v230, v228 :: v_dual_mov_b32 v229, v227
	v_dual_mov_b32 v227, v232 :: v_dual_mov_b32 v228, v233
	v_add_f64_e32 v[158:159], v[112:113], v[158:159]
	v_add_f64_e32 v[154:155], v[114:115], v[154:155]
	;; [unrolled: 1-line block ×3, first 2 shown]
	v_dual_mov_b32 v232, v221 :: v_dual_mov_b32 v231, v220
	v_mul_f64_e32 v[220:221], s[36:37], v[199:200]
	v_add_f64_e64 v[116:117], v[183:184], -v[116:117]
	v_mul_f64_e32 v[183:184], s[16:17], v[205:206]
	v_mul_f64_e32 v[205:206], s[40:41], v[205:206]
	v_add_f64_e32 v[118:119], v[118:119], v[253:254]
	v_add_f64_e32 v[235:236], v[112:113], v[122:123]
	;; [unrolled: 1-line block ×3, first 2 shown]
	s_mov_b32 s41, 0x3fea55e2
	s_mov_b32 s40, s10
	v_fma_f64 v[249:250], v[203:204], s[14:15], -v[183:184]
	v_fma_f64 v[183:184], v[203:204], s[14:15], v[183:184]
	v_fma_f64 v[251:252], v[203:204], s[30:31], -v[205:206]
	v_fma_f64 v[203:204], v[203:204], s[30:31], v[205:206]
	v_add_f64_e32 v[205:206], v[112:113], v[210:211]
	v_add_f64_e32 v[210:211], v[112:113], v[247:248]
	;; [unrolled: 1-line block ×8, first 2 shown]
	v_fma_f64 v[112:113], v[165:166], s[30:31], v[124:125]
	v_mul_f64_e32 v[116:117], s[34:35], v[179:180]
	v_fma_f64 v[114:115], v[161:162], s[30:31], -v[126:127]
	v_fma_f64 v[124:125], v[165:166], s[30:31], -v[124:125]
	v_fma_f64 v[126:127], v[161:162], s[30:31], v[126:127]
	v_add_f64_e32 v[112:113], v[112:113], v[148:149]
	v_fma_f64 v[118:119], v[173:174], s[22:23], v[116:117]
	v_add_f64_e32 v[114:115], v[114:115], v[205:206]
	v_add_f64_e32 v[124:125], v[124:125], v[136:137]
	v_fma_f64 v[116:117], v[173:174], s[22:23], -v[116:117]
	v_add_f64_e32 v[126:127], v[126:127], v[156:157]
	v_mul_f64_e32 v[136:137], s[10:11], v[179:180]
	v_add_f64_e32 v[112:113], v[118:119], v[112:113]
	v_mul_f64_e32 v[118:119], s[34:35], v[169:170]
	;; [unrolled: 2-line block ×3, first 2 shown]
	s_delay_alu instid0(VALU_DEP_3) | instskip(SKIP_1) | instid1(VALU_DEP_2)
	v_fma_f64 v[120:121], v[167:168], s[22:23], -v[118:119]
	v_fma_f64 v[118:119], v[167:168], s[22:23], v[118:119]
	v_add_f64_e32 v[114:115], v[120:121], v[114:115]
	s_wait_alu 0xfffe
	v_mul_f64_e32 v[120:121], s[40:41], v[193:194]
	s_delay_alu instid0(VALU_DEP_3) | instskip(SKIP_1) | instid1(VALU_DEP_3)
	v_add_f64_e32 v[118:119], v[118:119], v[126:127]
	v_mul_f64_e32 v[126:127], s[36:37], v[163:164]
	v_fma_f64 v[122:123], v[181:182], s[2:3], v[120:121]
	v_fma_f64 v[120:121], v[181:182], s[2:3], -v[120:121]
	s_delay_alu instid0(VALU_DEP_2) | instskip(SKIP_1) | instid1(VALU_DEP_3)
	v_add_f64_e32 v[112:113], v[122:123], v[112:113]
	v_mul_f64_e32 v[122:123], s[40:41], v[177:178]
	v_add_f64_e32 v[116:117], v[120:121], v[116:117]
	s_delay_alu instid0(VALU_DEP_2) | instskip(SKIP_2) | instid1(VALU_DEP_3)
	v_fma_f64 v[148:149], v[175:176], s[2:3], -v[122:123]
	v_fma_f64 v[120:121], v[175:176], s[2:3], v[122:123]
	v_fma_f64 v[122:123], v[189:190], s[24:25], v[220:221]
	v_add_f64_e32 v[114:115], v[148:149], v[114:115]
	v_mul_f64_e32 v[148:149], s[16:17], v[197:198]
	s_delay_alu instid0(VALU_DEP_4) | instskip(NEXT) | instid1(VALU_DEP_2)
	v_add_f64_e32 v[118:119], v[120:121], v[118:119]
	v_fma_f64 v[205:206], v[187:188], s[14:15], v[148:149]
	v_fma_f64 v[120:121], v[187:188], s[14:15], -v[148:149]
	v_fma_f64 v[148:149], v[173:174], s[2:3], v[136:137]
	v_fma_f64 v[136:137], v[173:174], s[2:3], -v[136:137]
	s_delay_alu instid0(VALU_DEP_4) | instskip(SKIP_2) | instid1(VALU_DEP_2)
	v_add_f64_e32 v[112:113], v[205:206], v[112:113]
	v_mul_f64_e32 v[205:206], s[16:17], v[191:192]
	v_add_f64_e32 v[116:117], v[120:121], v[116:117]
	v_fma_f64 v[120:121], v[185:186], s[14:15], v[205:206]
	v_fma_f64 v[216:217], v[185:186], s[14:15], -v[205:206]
	s_delay_alu instid0(VALU_DEP_2) | instskip(SKIP_1) | instid1(VALU_DEP_3)
	v_add_f64_e32 v[120:121], v[120:121], v[118:119]
	v_fma_f64 v[118:119], v[195:196], s[24:25], -v[218:219]
	v_add_f64_e32 v[216:217], v[216:217], v[114:115]
	v_fma_f64 v[114:115], v[195:196], s[24:25], v[218:219]
	s_delay_alu instid0(VALU_DEP_3)
	v_add_f64_e32 v[118:119], v[118:119], v[116:117]
	v_add_f64_e32 v[116:117], v[122:123], v[120:121]
	v_fma_f64 v[120:121], v[165:166], s[24:25], v[124:125]
	v_fma_f64 v[122:123], v[161:162], s[24:25], -v[126:127]
	v_fma_f64 v[124:125], v[165:166], s[24:25], -v[124:125]
	v_fma_f64 v[126:127], v[161:162], s[24:25], v[126:127]
	v_add_f64_e32 v[114:115], v[114:115], v[112:113]
	v_fma_f64 v[112:113], v[189:190], s[24:25], -v[220:221]
	v_add_f64_e32 v[120:121], v[120:121], v[150:151]
	v_add_f64_e32 v[122:123], v[122:123], v[210:211]
	;; [unrolled: 1-line block ×4, first 2 shown]
	v_mul_f64_e32 v[210:211], s[16:17], v[201:202]
	v_add_f64_e32 v[112:113], v[112:113], v[216:217]
	v_mul_f64_e32 v[216:217], s[16:17], v[199:200]
	v_mul_f64_e32 v[158:159], s[2:3], v[185:186]
	scratch_load_b64 v[138:139], off, off offset:76 th:TH_LOAD_LU ; 8-byte Folded Reload
	v_add_f64_e32 v[120:121], v[148:149], v[120:121]
	v_mul_f64_e32 v[148:149], s[10:11], v[169:170]
	v_add_f64_e32 v[124:125], v[136:137], v[124:125]
	v_add_f64_e32 v[158:159], v[158:159], v[229:230]
	s_delay_alu instid0(VALU_DEP_3) | instskip(SKIP_2) | instid1(VALU_DEP_3)
	v_fma_f64 v[150:151], v[167:168], s[2:3], -v[148:149]
	v_fma_f64 v[136:137], v[167:168], s[2:3], v[148:149]
	v_mul_f64_e32 v[148:149], s[28:29], v[193:194]
	v_add_f64_e32 v[122:123], v[150:151], v[122:123]
	v_mul_f64_e32 v[150:151], s[42:43], v[193:194]
	s_delay_alu instid0(VALU_DEP_4) | instskip(NEXT) | instid1(VALU_DEP_4)
	v_add_f64_e32 v[126:127], v[136:137], v[126:127]
	v_add_f64_e64 v[148:149], v[239:240], -v[148:149]
	s_delay_alu instid0(VALU_DEP_3) | instskip(SKIP_2) | instid1(VALU_DEP_3)
	v_fma_f64 v[156:157], v[181:182], s[18:19], v[150:151]
	v_fma_f64 v[136:137], v[181:182], s[18:19], -v[150:151]
	v_mul_f64_e32 v[150:151], s[22:23], v[175:176]
	v_add_f64_e32 v[120:121], v[156:157], v[120:121]
	v_mul_f64_e32 v[156:157], s[42:43], v[177:178]
	s_delay_alu instid0(VALU_DEP_4) | instskip(NEXT) | instid1(VALU_DEP_4)
	v_add_f64_e32 v[124:125], v[136:137], v[124:125]
	v_add_f64_e32 v[150:151], v[150:151], v[231:232]
	s_delay_alu instid0(VALU_DEP_3) | instskip(SKIP_2) | instid1(VALU_DEP_3)
	v_fma_f64 v[136:137], v[175:176], s[18:19], v[156:157]
	v_fma_f64 v[205:206], v[175:176], s[18:19], -v[156:157]
	v_mul_f64_e32 v[156:157], s[36:37], v[197:198]
	v_add_f64_e32 v[126:127], v[136:137], v[126:127]
	scratch_load_b64 v[136:137], off, off offset:68 th:TH_LOAD_LU ; 8-byte Folded Reload
	v_add_f64_e32 v[122:123], v[205:206], v[122:123]
	v_fma_f64 v[205:206], v[187:188], s[30:31], v[130:131]
	v_fma_f64 v[130:131], v[187:188], s[30:31], -v[130:131]
	v_add_f64_e64 v[156:157], v[243:244], -v[156:157]
	s_delay_alu instid0(VALU_DEP_3) | instskip(NEXT) | instid1(VALU_DEP_3)
	v_add_f64_e32 v[120:121], v[205:206], v[120:121]
	v_add_f64_e32 v[124:125], v[130:131], v[124:125]
	v_fma_f64 v[130:131], v[185:186], s[30:31], v[134:135]
	v_fma_f64 v[205:206], v[185:186], s[30:31], -v[134:135]
	v_fma_f64 v[134:135], v[189:190], s[14:15], v[216:217]
	s_delay_alu instid0(VALU_DEP_3) | instskip(SKIP_1) | instid1(VALU_DEP_4)
	v_add_f64_e32 v[130:131], v[130:131], v[126:127]
	v_fma_f64 v[126:127], v[195:196], s[14:15], -v[210:211]
	v_add_f64_e32 v[205:206], v[205:206], v[122:123]
	v_fma_f64 v[122:123], v[195:196], s[14:15], v[210:211]
	v_mul_f64_e32 v[210:211], s[40:41], v[201:202]
	s_delay_alu instid0(VALU_DEP_4)
	v_add_f64_e32 v[126:127], v[126:127], v[124:125]
	v_add_f64_e32 v[124:125], v[134:135], v[130:131]
	v_mul_f64_e32 v[134:135], s[16:17], v[171:172]
	v_mul_f64_e32 v[130:131], s[20:21], v[179:180]
	v_add_f64_e32 v[122:123], v[122:123], v[120:121]
	v_fma_f64 v[120:121], v[189:190], s[14:15], -v[216:217]
	s_delay_alu instid0(VALU_DEP_3) | instskip(NEXT) | instid1(VALU_DEP_2)
	v_add_f64_e64 v[130:131], v[224:225], -v[130:131]
	v_add_f64_e32 v[120:121], v[120:121], v[205:206]
	s_wait_loadcnt 0x0
	v_add_f64_e64 v[134:135], v[136:137], -v[134:135]
	v_mul_f64_e32 v[136:137], s[18:19], v[167:168]
	s_delay_alu instid0(VALU_DEP_2) | instskip(NEXT) | instid1(VALU_DEP_2)
	v_add_f64_e32 v[134:135], v[134:135], v[233:234]
	v_add_f64_e32 v[136:137], v[136:137], v[138:139]
	v_mul_f64_e32 v[138:139], s[14:15], v[161:162]
	s_delay_alu instid0(VALU_DEP_3) | instskip(NEXT) | instid1(VALU_DEP_2)
	v_add_f64_e32 v[130:131], v[130:131], v[134:135]
	v_add_f64_e32 v[138:139], v[138:139], v[212:213]
	v_mul_f64_e32 v[212:213], s[40:41], v[199:200]
	s_delay_alu instid0(VALU_DEP_3) | instskip(SKIP_1) | instid1(VALU_DEP_4)
	v_add_f64_e32 v[130:131], v[148:149], v[130:131]
	v_mul_f64_e32 v[148:149], s[18:19], v[161:162]
	v_add_f64_e32 v[138:139], v[138:139], v[235:236]
	s_delay_alu instid0(VALU_DEP_3) | instskip(NEXT) | instid1(VALU_DEP_3)
	v_add_f64_e32 v[130:131], v[156:157], v[130:131]
	v_add_f64_e32 v[148:149], v[148:149], v[245:246]
	s_delay_alu instid0(VALU_DEP_3)
	v_add_f64_e32 v[134:135], v[136:137], v[138:139]
	scratch_load_b64 v[138:139], off, off offset:60 th:TH_LOAD_LU ; 8-byte Folded Reload
	v_mul_f64_e32 v[136:137], s[24:25], v[185:186]
	v_mul_f64_e32 v[156:157], s[10:11], v[197:198]
	v_add_f64_e32 v[148:149], v[148:149], v[253:254]
	v_add_f64_e32 v[134:135], v[150:151], v[134:135]
	v_mul_f64_e32 v[150:151], s[30:31], v[175:176]
	v_add_f64_e32 v[136:137], v[136:137], v[237:238]
	v_add_f64_e64 v[156:157], v[10:11], -v[156:157]
	s_delay_alu instid0(VALU_DEP_3) | instskip(NEXT) | instid1(VALU_DEP_3)
	v_add_f64_e32 v[150:151], v[150:151], v[227:228]
	v_add_f64_e32 v[134:135], v[136:137], v[134:135]
	v_mul_f64_e32 v[136:137], s[20:21], v[171:172]
	s_wait_loadcnt 0x0
	v_add_f64_e64 v[128:129], v[138:139], -v[128:129]
	v_mul_f64_e32 v[138:139], s[30:31], v[189:190]
	s_delay_alu instid0(VALU_DEP_2) | instskip(NEXT) | instid1(VALU_DEP_2)
	v_add_f64_e32 v[130:131], v[128:129], v[130:131]
	v_add_f64_e32 v[138:139], v[138:139], v[241:242]
	s_delay_alu instid0(VALU_DEP_1) | instskip(SKIP_2) | instid1(VALU_DEP_1)
	v_add_f64_e32 v[128:129], v[138:139], v[134:135]
	scratch_load_b64 v[138:139], off, off offset:52 th:TH_LOAD_LU ; 8-byte Folded Reload
	v_mul_f64_e32 v[134:135], s[38:39], v[179:180]
	v_add_f64_e64 v[134:135], v[4:5], -v[134:135]
	s_wait_loadcnt 0x0
	v_add_f64_e64 v[136:137], v[138:139], -v[136:137]
	v_mul_f64_e32 v[138:139], s[14:15], v[167:168]
	s_delay_alu instid0(VALU_DEP_2) | instskip(NEXT) | instid1(VALU_DEP_2)
	v_add_f64_e32 v[136:137], v[136:137], v[249:250]
	v_add_f64_e32 v[138:139], v[138:139], v[208:209]
	s_delay_alu instid0(VALU_DEP_2) | instskip(NEXT) | instid1(VALU_DEP_2)
	v_add_f64_e32 v[134:135], v[134:135], v[136:137]
	v_add_f64_e32 v[136:137], v[138:139], v[148:149]
	v_mul_f64_e32 v[138:139], s[34:35], v[201:202]
	s_delay_alu instid0(VALU_DEP_3) | instskip(NEXT) | instid1(VALU_DEP_3)
	v_add_f64_e32 v[132:133], v[132:133], v[134:135]
	v_add_f64_e32 v[134:135], v[150:151], v[136:137]
	v_mul_f64_e32 v[136:137], s[22:23], v[189:190]
	s_delay_alu instid0(VALU_DEP_4)
	v_add_f64_e64 v[138:139], v[8:9], -v[138:139]
	v_fma_f64 v[150:151], v[173:174], s[30:31], -v[140:141]
	v_fma_f64 v[140:141], v[173:174], s[30:31], v[140:141]
	v_add_f64_e32 v[132:133], v[156:157], v[132:133]
	v_add_f64_e32 v[148:149], v[158:159], v[134:135]
	;; [unrolled: 1-line block ×3, first 2 shown]
	s_delay_alu instid0(VALU_DEP_3) | instskip(NEXT) | instid1(VALU_DEP_2)
	v_add_f64_e32 v[134:135], v[138:139], v[132:133]
	v_add_f64_e32 v[132:133], v[136:137], v[148:149]
	v_mul_f64_e32 v[148:149], s[28:29], v[171:172]
	s_delay_alu instid0(VALU_DEP_1) | instskip(SKIP_1) | instid1(VALU_DEP_2)
	v_fma_f64 v[136:137], v[165:166], s[22:23], -v[148:149]
	v_fma_f64 v[148:149], v[165:166], s[22:23], v[148:149]
	v_add_f64_e32 v[136:137], v[136:137], v[144:145]
	v_mul_f64_e32 v[144:145], s[28:29], v[163:164]
	s_delay_alu instid0(VALU_DEP_3)
	v_add_f64_e32 v[148:149], v[148:149], v[152:153]
	v_mul_f64_e32 v[152:153], s[26:27], v[179:180]
	v_mul_f64_e32 v[179:180], s[20:21], v[201:202]
	v_add_f64_e32 v[136:137], v[150:151], v[136:137]
	v_fma_f64 v[138:139], v[161:162], s[22:23], v[144:145]
	v_fma_f64 v[150:151], v[167:168], s[30:31], v[142:143]
	v_fma_f64 v[144:145], v[161:162], s[22:23], -v[144:145]
	v_fma_f64 v[142:143], v[167:168], s[30:31], -v[142:143]
	v_add_f64_e32 v[140:141], v[140:141], v[148:149]
	v_fma_f64 v[148:149], v[189:190], s[2:3], -v[212:213]
	v_add_f64_e32 v[138:139], v[138:139], v[183:184]
	v_add_f64_e32 v[144:145], v[144:145], v[247:248]
	s_delay_alu instid0(VALU_DEP_2) | instskip(SKIP_1) | instid1(VALU_DEP_3)
	v_add_f64_e32 v[138:139], v[150:151], v[138:139]
	v_mul_f64_e32 v[150:151], s[26:27], v[193:194]
	v_add_f64_e32 v[142:143], v[142:143], v[144:145]
	s_delay_alu instid0(VALU_DEP_2) | instskip(SKIP_2) | instid1(VALU_DEP_3)
	v_fma_f64 v[156:157], v[181:182], s[24:25], -v[150:151]
	v_fma_f64 v[144:145], v[181:182], s[24:25], v[150:151]
	v_mul_f64_e32 v[150:151], s[10:11], v[163:164]
	v_add_f64_e32 v[136:137], v[156:157], v[136:137]
	v_mul_f64_e32 v[156:157], s[26:27], v[177:178]
	s_delay_alu instid0(VALU_DEP_4) | instskip(NEXT) | instid1(VALU_DEP_2)
	v_add_f64_e32 v[140:141], v[144:145], v[140:141]
	v_fma_f64 v[158:159], v[175:176], s[24:25], v[156:157]
	v_fma_f64 v[144:145], v[175:176], s[24:25], -v[156:157]
	v_fma_f64 v[156:157], v[173:174], s[24:25], -v[152:153]
	v_fma_f64 v[152:153], v[173:174], s[24:25], v[152:153]
	s_delay_alu instid0(VALU_DEP_4) | instskip(SKIP_2) | instid1(VALU_DEP_2)
	v_add_f64_e32 v[138:139], v[158:159], v[138:139]
	v_mul_f64_e32 v[158:159], s[42:43], v[197:198]
	v_add_f64_e32 v[142:143], v[144:145], v[142:143]
	v_fma_f64 v[183:184], v[187:188], s[18:19], -v[158:159]
	v_fma_f64 v[144:145], v[187:188], s[18:19], v[158:159]
	s_delay_alu instid0(VALU_DEP_2) | instskip(SKIP_1) | instid1(VALU_DEP_3)
	v_add_f64_e32 v[136:137], v[183:184], v[136:137]
	v_mul_f64_e32 v[183:184], s[42:43], v[191:192]
	v_add_f64_e32 v[140:141], v[144:145], v[140:141]
	s_delay_alu instid0(VALU_DEP_2) | instskip(SKIP_2) | instid1(VALU_DEP_3)
	v_fma_f64 v[144:145], v[185:186], s[18:19], -v[183:184]
	v_fma_f64 v[205:206], v[185:186], s[18:19], v[183:184]
	v_mul_f64_e32 v[183:184], s[20:21], v[199:200]
	v_add_f64_e32 v[144:145], v[144:145], v[142:143]
	v_fma_f64 v[142:143], v[195:196], s[2:3], v[210:211]
	s_delay_alu instid0(VALU_DEP_4) | instskip(SKIP_1) | instid1(VALU_DEP_3)
	v_add_f64_e32 v[205:206], v[205:206], v[138:139]
	v_fma_f64 v[138:139], v[195:196], s[2:3], -v[210:211]
	v_add_f64_e32 v[142:143], v[142:143], v[140:141]
	v_add_f64_e32 v[140:141], v[148:149], v[144:145]
	v_mul_f64_e32 v[148:149], s[10:11], v[171:172]
	s_delay_alu instid0(VALU_DEP_4) | instskip(SKIP_1) | instid1(VALU_DEP_3)
	v_add_f64_e32 v[138:139], v[138:139], v[136:137]
	v_fma_f64 v[136:137], v[189:190], s[2:3], v[212:213]
	v_fma_f64 v[144:145], v[165:166], s[2:3], -v[148:149]
	v_fma_f64 v[148:149], v[165:166], s[2:3], v[148:149]
	s_delay_alu instid0(VALU_DEP_3) | instskip(NEXT) | instid1(VALU_DEP_3)
	v_add_f64_e32 v[136:137], v[136:137], v[205:206]
	v_add_f64_e32 v[144:145], v[144:145], v[146:147]
	v_fma_f64 v[146:147], v[161:162], s[2:3], v[150:151]
	v_fma_f64 v[150:151], v[161:162], s[2:3], -v[150:151]
	v_add_f64_e32 v[148:149], v[148:149], v[154:155]
	s_delay_alu instid0(VALU_DEP_4) | instskip(SKIP_4) | instid1(VALU_DEP_4)
	v_add_f64_e32 v[144:145], v[156:157], v[144:145]
	v_mul_f64_e32 v[156:157], s[26:27], v[169:170]
	v_add_f64_e32 v[146:147], v[146:147], v[203:204]
	v_add_f64_e32 v[150:151], v[150:151], v[251:252]
	;; [unrolled: 1-line block ×3, first 2 shown]
	v_fma_f64 v[158:159], v[167:168], s[24:25], v[156:157]
	v_fma_f64 v[156:157], v[167:168], s[24:25], -v[156:157]
	s_delay_alu instid0(VALU_DEP_2) | instskip(SKIP_1) | instid1(VALU_DEP_3)
	v_add_f64_e32 v[146:147], v[158:159], v[146:147]
	v_mul_f64_e32 v[158:159], s[16:17], v[193:194]
	v_add_f64_e32 v[150:151], v[156:157], v[150:151]
	s_delay_alu instid0(VALU_DEP_2) | instskip(SKIP_1) | instid1(VALU_DEP_2)
	v_fma_f64 v[163:164], v[181:182], s[14:15], -v[158:159]
	v_fma_f64 v[154:155], v[181:182], s[14:15], v[158:159]
	v_add_f64_e32 v[144:145], v[163:164], v[144:145]
	v_mul_f64_e32 v[163:164], s[16:17], v[177:178]
	s_delay_alu instid0(VALU_DEP_3) | instskip(SKIP_1) | instid1(VALU_DEP_3)
	v_add_f64_e32 v[148:149], v[154:155], v[148:149]
	v_fma_f64 v[154:155], v[195:196], s[18:19], v[179:180]
	v_fma_f64 v[169:170], v[175:176], s[14:15], v[163:164]
	v_fma_f64 v[158:159], v[175:176], s[14:15], -v[163:164]
	s_delay_alu instid0(VALU_DEP_2) | instskip(SKIP_1) | instid1(VALU_DEP_3)
	v_add_f64_e32 v[146:147], v[169:170], v[146:147]
	v_mul_f64_e32 v[169:170], s[34:35], v[197:198]
	v_add_f64_e32 v[150:151], v[158:159], v[150:151]
	v_fma_f64 v[158:159], v[189:190], s[18:19], -v[183:184]
	s_delay_alu instid0(VALU_DEP_3) | instskip(SKIP_1) | instid1(VALU_DEP_2)
	v_fma_f64 v[171:172], v[187:188], s[22:23], -v[169:170]
	v_fma_f64 v[152:153], v[187:188], s[22:23], v[169:170]
	v_add_f64_e32 v[144:145], v[171:172], v[144:145]
	v_mul_f64_e32 v[171:172], s[34:35], v[191:192]
	s_delay_alu instid0(VALU_DEP_3) | instskip(NEXT) | instid1(VALU_DEP_2)
	v_add_f64_e32 v[148:149], v[152:153], v[148:149]
	v_fma_f64 v[156:157], v[185:186], s[22:23], -v[171:172]
	v_fma_f64 v[177:178], v[185:186], s[22:23], v[171:172]
	s_delay_alu instid0(VALU_DEP_2) | instskip(NEXT) | instid1(VALU_DEP_4)
	v_add_f64_e32 v[152:153], v[156:157], v[150:151]
	v_add_f64_e32 v[150:151], v[154:155], v[148:149]
	s_delay_alu instid0(VALU_DEP_3) | instskip(SKIP_1) | instid1(VALU_DEP_4)
	v_add_f64_e32 v[177:178], v[177:178], v[146:147]
	v_fma_f64 v[146:147], v[195:196], s[18:19], -v[179:180]
	v_add_f64_e32 v[148:149], v[158:159], v[152:153]
	scratch_load_b32 v152, off, off th:TH_LOAD_LU ; 4-byte Folded Reload
	v_add_f64_e32 v[146:147], v[146:147], v[144:145]
	v_fma_f64 v[144:145], v[189:190], s[18:19], v[183:184]
	s_delay_alu instid0(VALU_DEP_1) | instskip(SKIP_2) | instid1(VALU_DEP_1)
	v_add_f64_e32 v[144:145], v[144:145], v[177:178]
	s_wait_loadcnt 0x0
	v_and_b32_e32 v152, 0xffff, v152
	v_lshlrev_b32_e32 v152, 4, v152
	ds_store_b128 v152, v[128:131] offset:32
	ds_store_b128 v152, v[132:135] offset:48
	;; [unrolled: 1-line block ×11, first 2 shown]
	ds_store_b128 v152, v[0:3]
	ds_store_b128 v152, v[148:151] offset:192
.LBB0_17:
	s_wait_alu 0xfffe
	s_or_b32 exec_lo, exec_lo, s1
	global_wb scope:SCOPE_SE
	s_wait_dscnt 0x0
	s_barrier_signal -1
	s_barrier_wait -1
	global_inv scope:SCOPE_SE
	ds_load_b128 v[0:3], v160 offset:6240
	ds_load_b128 v[112:115], v160 offset:12480
	;; [unrolled: 1-line block ×8, first 2 shown]
	s_clause 0x2
	scratch_load_b128 v[8:11], off, off offset:20 th:TH_LOAD_LU
	scratch_load_b128 v[4:7], off, off offset:4 th:TH_LOAD_LU
	;; [unrolled: 1-line block ×3, first 2 shown]
	s_mov_b32 s10, 0x134454ff
	s_mov_b32 s11, 0xbfee6f0e
	;; [unrolled: 1-line block ×3, first 2 shown]
	s_wait_alu 0xfffe
	s_mov_b32 s2, s10
	s_mov_b32 s18, 0x4755a5e
	;; [unrolled: 1-line block ×4, first 2 shown]
	s_wait_alu 0xfffe
	s_mov_b32 s14, s18
	s_mov_b32 s16, 0x372fe950
	s_wait_dscnt 0x7
	v_mul_f64_e32 v[140:141], v[18:19], v[2:3]
	v_mul_f64_e32 v[18:19], v[18:19], v[0:1]
	s_mov_b32 s17, 0x3fd3c6ef
	s_mov_b32 s20, 0x9b97f4a8
	s_wait_dscnt 0x3
	v_mul_f64_e32 v[148:149], v[22:23], v[126:127]
	s_wait_dscnt 0x2
	v_mul_f64_e32 v[150:151], v[34:35], v[130:131]
	;; [unrolled: 2-line block ×3, first 2 shown]
	v_mul_f64_e32 v[34:35], v[34:35], v[128:129]
	v_mul_f64_e32 v[30:31], v[30:31], v[132:133]
	s_wait_dscnt 0x0
	v_mul_f64_e32 v[154:155], v[26:27], v[138:139]
	v_mul_f64_e32 v[22:23], v[22:23], v[124:125]
	;; [unrolled: 1-line block ×3, first 2 shown]
	s_mov_b32 s21, 0x3fe9e377
	s_mov_b32 s23, 0xbfd3c6ef
	s_wait_alu 0xfffe
	s_mov_b32 s22, s16
	s_mov_b32 s25, 0xbfe9e377
	;; [unrolled: 1-line block ×3, first 2 shown]
	v_fma_f64 v[140:141], v[16:17], v[0:1], v[140:141]
	v_fma_f64 v[16:17], v[16:17], v[2:3], -v[18:19]
	ds_load_b128 v[0:3], v160
	s_wait_loadcnt 0x2
	v_mul_f64_e32 v[142:143], v[10:11], v[114:115]
	s_wait_loadcnt 0x1
	v_mul_f64_e32 v[144:145], v[6:7], v[118:119]
	v_mul_f64_e32 v[10:11], v[10:11], v[112:113]
	v_mul_f64_e32 v[6:7], v[6:7], v[116:117]
	s_wait_loadcnt 0x0
	v_mul_f64_e32 v[146:147], v[14:15], v[122:123]
	v_mul_f64_e32 v[14:15], v[14:15], v[120:121]
	v_fma_f64 v[112:113], v[8:9], v[112:113], v[142:143]
	v_fma_f64 v[116:117], v[4:5], v[116:117], v[144:145]
	v_fma_f64 v[8:9], v[8:9], v[114:115], -v[10:11]
	v_fma_f64 v[10:11], v[4:5], v[118:119], -v[6:7]
	ds_load_b128 v[4:7], v160 offset:3120
	v_fma_f64 v[18:19], v[12:13], v[120:121], v[146:147]
	v_fma_f64 v[12:13], v[12:13], v[122:123], -v[14:15]
	v_fma_f64 v[114:115], v[32:33], v[128:129], v[150:151]
	v_fma_f64 v[118:119], v[28:29], v[132:133], v[152:153]
	v_fma_f64 v[32:33], v[32:33], v[130:131], -v[34:35]
	v_fma_f64 v[28:29], v[28:29], v[134:135], -v[30:31]
	v_fma_f64 v[14:15], v[20:21], v[124:125], v[148:149]
	v_fma_f64 v[34:35], v[24:25], v[136:137], v[154:155]
	v_fma_f64 v[20:21], v[20:21], v[126:127], -v[22:23]
	v_fma_f64 v[22:23], v[24:25], v[138:139], -v[26:27]
	s_wait_dscnt 0x1
	v_add_f64_e32 v[130:131], v[0:1], v[140:141]
	v_add_f64_e32 v[136:137], v[2:3], v[16:17]
	global_wb scope:SCOPE_SE
	s_wait_dscnt 0x0
	s_barrier_signal -1
	s_barrier_wait -1
	global_inv scope:SCOPE_SE
	v_add_f64_e32 v[24:25], v[112:113], v[116:117]
	v_add_f64_e64 v[154:155], v[16:17], -v[8:9]
	v_add_f64_e32 v[30:31], v[8:9], v[10:11]
	v_add_f64_e64 v[134:135], v[8:9], -v[10:11]
	v_add_f64_e32 v[26:27], v[140:141], v[18:19]
	v_add_f64_e32 v[120:121], v[16:17], v[12:13]
	v_add_f64_e64 v[132:133], v[16:17], -v[12:13]
	v_add_f64_e32 v[122:123], v[114:115], v[118:119]
	v_add_f64_e64 v[144:145], v[140:141], -v[18:19]
	v_add_f64_e32 v[126:127], v[32:33], v[28:29]
	v_add_f64_e32 v[138:139], v[4:5], v[14:15]
	;; [unrolled: 1-line block ×5, first 2 shown]
	v_add_f64_e64 v[146:147], v[20:21], -v[22:23]
	v_add_f64_e64 v[148:149], v[14:15], -v[34:35]
	v_add_f64_e64 v[150:151], v[18:19], -v[116:117]
	v_add_f64_e64 v[156:157], v[12:13], -v[10:11]
	v_add_f64_e64 v[16:17], v[8:9], -v[16:17]
	v_add_f64_e64 v[161:162], v[14:15], -v[114:115]
	v_add_f64_e64 v[14:15], v[114:115], -v[14:15]
	v_add_f64_e64 v[165:166], v[118:119], -v[34:35]
	v_add_f64_e32 v[8:9], v[136:137], v[8:9]
	v_add_f64_e64 v[163:164], v[34:35], -v[118:119]
	v_add_f64_e64 v[167:168], v[20:21], -v[32:33]
	;; [unrolled: 1-line block ×7, first 2 shown]
	v_fma_f64 v[24:25], v[24:25], -0.5, v[0:1]
	v_fma_f64 v[30:31], v[30:31], -0.5, v[2:3]
	;; [unrolled: 1-line block ×3, first 2 shown]
	v_add_f64_e64 v[26:27], v[112:113], -v[116:117]
	v_fma_f64 v[2:3], v[120:121], -0.5, v[2:3]
	v_fma_f64 v[122:123], v[122:123], -0.5, v[4:5]
	v_add_f64_e64 v[120:121], v[32:33], -v[28:29]
	v_fma_f64 v[126:127], v[126:127], -0.5, v[6:7]
	v_fma_f64 v[4:5], v[124:125], -0.5, v[4:5]
	v_add_f64_e64 v[124:125], v[114:115], -v[118:119]
	v_fma_f64 v[6:7], v[128:129], -0.5, v[6:7]
	v_add_f64_e64 v[128:129], v[140:141], -v[112:113]
	v_add_f64_e64 v[140:141], v[112:113], -v[140:141]
	v_add_f64_e32 v[112:113], v[130:131], v[112:113]
	v_add_f64_e32 v[114:115], v[138:139], v[114:115]
	;; [unrolled: 1-line block ×4, first 2 shown]
	v_fma_f64 v[130:131], v[132:133], s[10:11], v[24:25]
	v_fma_f64 v[24:25], v[132:133], s[2:3], v[24:25]
	;; [unrolled: 1-line block ×16, first 2 shown]
	v_add_f64_e32 v[128:129], v[128:129], v[150:151]
	v_add_f64_e32 v[150:151], v[154:155], v[156:157]
	;; [unrolled: 1-line block ×11, first 2 shown]
	v_fma_f64 v[20:21], v[134:135], s[18:19], v[130:131]
	v_fma_f64 v[24:25], v[134:135], s[14:15], v[24:25]
	v_fma_f64 v[112:113], v[26:27], s[14:15], v[138:139]
	v_fma_f64 v[26:27], v[26:27], s[18:19], v[30:31]
	v_fma_f64 v[28:29], v[132:133], s[18:19], v[136:137]
	v_fma_f64 v[32:33], v[132:133], s[14:15], v[0:1]
	v_fma_f64 v[30:31], v[144:145], s[14:15], v[142:143]
	v_fma_f64 v[114:115], v[144:145], s[18:19], v[2:3]
	v_fma_f64 v[116:117], v[120:121], s[18:19], v[173:174]
	v_fma_f64 v[130:131], v[124:125], s[14:15], v[177:178]
	v_fma_f64 v[118:119], v[120:121], s[14:15], v[122:123]
	v_fma_f64 v[120:121], v[146:147], s[18:19], v[175:176]
	v_fma_f64 v[122:123], v[146:147], s[14:15], v[4:5]
	v_fma_f64 v[132:133], v[148:149], s[14:15], v[179:180]
	v_fma_f64 v[134:135], v[148:149], s[18:19], v[6:7]
	v_fma_f64 v[124:125], v[124:125], s[18:19], v[126:127]
	v_add_f64_e32 v[2:3], v[8:9], v[12:13]
	v_add_f64_e32 v[0:1], v[14:15], v[18:19]
	;; [unrolled: 1-line block ×4, first 2 shown]
	v_fma_f64 v[8:9], v[128:129], s[16:17], v[20:21]
	v_fma_f64 v[12:13], v[128:129], s[16:17], v[24:25]
	;; [unrolled: 1-line block ×16, first 2 shown]
	ds_store_b128 v226, v[0:3]
	ds_store_b128 v226, v[8:11] offset:208
	ds_store_b128 v226, v[16:19] offset:416
	;; [unrolled: 1-line block ×4, first 2 shown]
	ds_store_b128 v223, v[4:7]
	ds_store_b128 v223, v[24:27] offset:208
	ds_store_b128 v223, v[32:35] offset:416
	;; [unrolled: 1-line block ×4, first 2 shown]
	global_wb scope:SCOPE_SE
	s_wait_dscnt 0x0
	s_barrier_signal -1
	s_barrier_wait -1
	global_inv scope:SCOPE_SE
	ds_load_b128 v[0:3], v160 offset:9360
	ds_load_b128 v[4:7], v160 offset:15600
	;; [unrolled: 1-line block ×6, first 2 shown]
	s_wait_dscnt 0x5
	v_mul_f64_e32 v[24:25], v[58:59], v[0:1]
	s_wait_dscnt 0x4
	v_mul_f64_e32 v[26:27], v[74:75], v[4:5]
	;; [unrolled: 2-line block ×5, first 2 shown]
	v_mul_f64_e32 v[58:59], v[58:59], v[2:3]
	v_mul_f64_e32 v[74:75], v[74:75], v[6:7]
	;; [unrolled: 1-line block ×5, first 2 shown]
	v_fma_f64 v[114:115], v[56:57], v[2:3], -v[24:25]
	v_fma_f64 v[6:7], v[72:73], v[6:7], -v[26:27]
	;; [unrolled: 1-line block ×4, first 2 shown]
	ds_load_b128 v[24:27], v160 offset:12480
	ds_load_b128 v[28:31], v160 offset:18720
	;; [unrolled: 1-line block ×3, first 2 shown]
	s_wait_dscnt 0x3
	v_mul_f64_e32 v[2:3], v[54:55], v[22:23]
	v_mul_f64_e32 v[54:55], v[54:55], v[20:21]
	v_fma_f64 v[56:57], v[56:57], v[0:1], v[58:59]
	v_fma_f64 v[4:5], v[72:73], v[4:5], v[74:75]
	;; [unrolled: 1-line block ×4, first 2 shown]
	v_fma_f64 v[18:19], v[36:37], v[18:19], -v[112:113]
	v_fma_f64 v[16:17], v[36:37], v[16:17], v[38:39]
	s_wait_dscnt 0x2
	v_mul_f64_e32 v[116:117], v[50:51], v[26:27]
	v_mul_f64_e32 v[50:51], v[50:51], v[24:25]
	s_wait_dscnt 0x1
	v_mul_f64_e32 v[118:119], v[46:47], v[30:31]
	s_wait_dscnt 0x0
	v_mul_f64_e32 v[120:121], v[42:43], v[34:35]
	v_mul_f64_e32 v[46:47], v[46:47], v[28:29]
	;; [unrolled: 1-line block ×3, first 2 shown]
	v_add_f64_e64 v[68:69], v[114:115], -v[6:7]
	v_add_f64_e32 v[0:1], v[6:7], v[10:11]
	v_add_f64_e32 v[58:59], v[114:115], v[14:15]
	v_add_f64_e64 v[70:71], v[14:15], -v[10:11]
	v_fma_f64 v[20:21], v[52:53], v[20:21], v[2:3]
	v_fma_f64 v[22:23], v[52:53], v[22:23], -v[54:55]
	v_add_f64_e64 v[72:73], v[6:7], -v[114:115]
	v_add_f64_e64 v[74:75], v[10:11], -v[14:15]
	v_add_f64_e32 v[36:37], v[4:5], v[8:9]
	v_add_f64_e32 v[38:39], v[56:57], v[12:13]
	v_add_f64_e64 v[76:77], v[6:7], -v[10:11]
	v_add_f64_e64 v[124:125], v[56:57], -v[4:5]
	;; [unrolled: 1-line block ×4, first 2 shown]
	v_fma_f64 v[24:25], v[48:49], v[24:25], v[116:117]
	v_fma_f64 v[26:27], v[48:49], v[26:27], -v[50:51]
	v_fma_f64 v[28:29], v[44:45], v[28:29], v[118:119]
	v_fma_f64 v[32:33], v[40:41], v[32:33], v[120:121]
	v_fma_f64 v[30:31], v[44:45], v[30:31], -v[46:47]
	v_fma_f64 v[34:35], v[40:41], v[34:35], -v[42:43]
	v_add_f64_e64 v[40:41], v[56:57], -v[12:13]
	v_add_f64_e64 v[42:43], v[4:5], -v[8:9]
	v_fma_f64 v[44:45], v[0:1], -0.5, v[18:19]
	v_fma_f64 v[46:47], v[58:59], -0.5, v[18:19]
	v_add_f64_e64 v[58:59], v[114:115], -v[14:15]
	ds_load_b128 v[0:3], v160
	v_add_f64_e32 v[18:19], v[18:19], v[114:115]
	global_wb scope:SCOPE_SE
	s_wait_dscnt 0x0
	s_barrier_signal -1
	v_fma_f64 v[36:37], v[36:37], -0.5, v[16:17]
	v_fma_f64 v[38:39], v[38:39], -0.5, v[16:17]
	v_add_f64_e32 v[16:17], v[16:17], v[56:57]
	v_add_f64_e64 v[56:57], v[4:5], -v[56:57]
	s_barrier_wait -1
	global_inv scope:SCOPE_SE
	v_add_f64_e64 v[130:131], v[22:23], -v[26:27]
	v_add_f64_e32 v[48:49], v[24:25], v[28:29]
	v_add_f64_e32 v[50:51], v[20:21], v[32:33]
	;; [unrolled: 1-line block ×6, first 2 shown]
	v_add_f64_e64 v[118:119], v[22:23], -v[34:35]
	v_add_f64_e64 v[114:115], v[20:21], -v[32:33]
	;; [unrolled: 1-line block ×6, first 2 shown]
	v_fma_f64 v[78:79], v[40:41], s[2:3], v[44:45]
	v_fma_f64 v[112:113], v[42:43], s[10:11], v[46:47]
	v_fma_f64 v[46:47], v[42:43], s[2:3], v[46:47]
	v_fma_f64 v[44:45], v[40:41], s[10:11], v[44:45]
	v_add_f64_e32 v[6:7], v[18:19], v[6:7]
	v_add_f64_e32 v[4:5], v[16:17], v[4:5]
	;; [unrolled: 1-line block ×4, first 2 shown]
	v_fma_f64 v[48:49], v[48:49], -0.5, v[0:1]
	v_fma_f64 v[0:1], v[50:51], -0.5, v[0:1]
	;; [unrolled: 1-line block ×4, first 2 shown]
	v_add_f64_e32 v[54:55], v[68:69], v[70:71]
	v_add_f64_e32 v[68:69], v[72:73], v[74:75]
	v_fma_f64 v[70:71], v[58:59], s[10:11], v[36:37]
	v_fma_f64 v[72:73], v[76:77], s[2:3], v[38:39]
	;; [unrolled: 1-line block ×3, first 2 shown]
	v_add_f64_e64 v[50:51], v[24:25], -v[28:29]
	v_fma_f64 v[36:37], v[58:59], s[2:3], v[36:37]
	v_add_f64_e32 v[26:27], v[122:123], v[26:27]
	v_add_f64_e32 v[22:23], v[22:23], v[134:135]
	v_fma_f64 v[74:75], v[42:43], s[14:15], v[78:79]
	v_fma_f64 v[78:79], v[40:41], s[14:15], v[112:113]
	;; [unrolled: 1-line block ×4, first 2 shown]
	v_add_f64_e64 v[44:45], v[20:21], -v[24:25]
	v_add_f64_e64 v[20:21], v[24:25], -v[20:21]
	v_add_f64_e32 v[24:25], v[116:117], v[24:25]
	v_add_f64_e64 v[46:47], v[32:33], -v[28:29]
	v_add_f64_e64 v[112:113], v[28:29], -v[32:33]
	v_add_f64_e32 v[4:5], v[4:5], v[8:9]
	v_add_f64_e32 v[6:7], v[6:7], v[10:11]
	v_fma_f64 v[18:19], v[118:119], s[10:11], v[48:49]
	v_fma_f64 v[48:49], v[118:119], s[2:3], v[48:49]
	;; [unrolled: 1-line block ×12, first 2 shown]
	v_add_f64_e32 v[26:27], v[26:27], v[30:31]
	v_fma_f64 v[58:59], v[54:55], s[16:17], v[74:75]
	v_fma_f64 v[74:75], v[68:69], s[16:17], v[78:79]
	;; [unrolled: 1-line block ×4, first 2 shown]
	v_add_f64_e32 v[24:25], v[24:25], v[28:29]
	v_add_f64_e32 v[44:45], v[44:45], v[46:47]
	;; [unrolled: 1-line block ×6, first 2 shown]
	v_fma_f64 v[8:9], v[120:121], s[18:19], v[18:19]
	v_fma_f64 v[10:11], v[120:121], s[14:15], v[48:49]
	;; [unrolled: 1-line block ×12, first 2 shown]
	v_add_f64_e32 v[26:27], v[26:27], v[34:35]
	v_mul_f64_e32 v[52:53], s[18:19], v[58:59]
	v_mul_f64_e32 v[58:59], s[20:21], v[58:59]
	;; [unrolled: 1-line block ×5, first 2 shown]
	s_wait_alu 0xfffe
	v_mul_f64_e32 v[40:41], s[22:23], v[40:41]
	v_mul_f64_e32 v[68:69], s[18:19], v[42:43]
	;; [unrolled: 1-line block ×3, first 2 shown]
	v_add_f64_e32 v[24:25], v[24:25], v[32:33]
	v_fma_f64 v[32:33], v[44:45], s[16:17], v[8:9]
	v_fma_f64 v[34:35], v[44:45], s[16:17], v[10:11]
	;; [unrolled: 1-line block ×8, first 2 shown]
	v_add_f64_e32 v[6:7], v[26:27], v[14:15]
	v_add_f64_e64 v[10:11], v[26:27], -v[14:15]
	v_fma_f64 v[28:29], v[50:51], s[20:21], v[52:53]
	v_fma_f64 v[50:51], v[50:51], s[14:15], v[58:59]
	;; [unrolled: 1-line block ×8, first 2 shown]
	v_add_f64_e32 v[4:5], v[24:25], v[12:13]
	v_add_f64_e64 v[8:9], v[24:25], -v[12:13]
	v_add_f64_e32 v[12:13], v[32:33], v[28:29]
	v_add_f64_e32 v[14:15], v[72:73], v[50:51]
	;; [unrolled: 1-line block ×8, first 2 shown]
	v_add_f64_e64 v[28:29], v[32:33], -v[28:29]
	v_add_f64_e64 v[32:33], v[44:45], -v[30:31]
	;; [unrolled: 1-line block ×8, first 2 shown]
	ds_store_b128 v207, v[4:7]
	ds_store_b128 v207, v[12:15] offset:1040
	ds_store_b128 v207, v[16:19] offset:2080
	;; [unrolled: 1-line block ×9, first 2 shown]
	global_wb scope:SCOPE_SE
	s_wait_dscnt 0x0
	s_barrier_signal -1
	s_barrier_wait -1
	global_inv scope:SCOPE_SE
	ds_load_b128 v[12:15], v160
	ds_load_b128 v[4:7], v160 offset:3120
	ds_load_b128 v[28:31], v160 offset:20800
	;; [unrolled: 1-line block ×8, first 2 shown]
	s_and_saveexec_b32 s1, s0
	s_cbranch_execz .LBB0_19
; %bb.18:
	ds_load_b128 v[0:3], v160 offset:9360
	ds_load_b128 v[108:111], v160 offset:19760
	;; [unrolled: 1-line block ×3, first 2 shown]
.LBB0_19:
	s_wait_alu 0xfffe
	s_or_b32 exec_lo, exec_lo, s1
	s_wait_dscnt 0x4
	v_mul_f64_e32 v[40:41], v[90:91], v[38:39]
	v_mul_f64_e32 v[42:43], v[98:99], v[30:31]
	;; [unrolled: 1-line block ×4, first 2 shown]
	s_wait_dscnt 0x2
	v_mul_f64_e32 v[48:49], v[94:95], v[34:35]
	v_mul_f64_e32 v[50:51], v[102:103], v[18:19]
	v_mul_f64_e32 v[52:53], v[94:95], v[32:33]
	v_mul_f64_e32 v[54:55], v[102:103], v[16:17]
	s_wait_dscnt 0x1
	v_mul_f64_e32 v[56:57], v[86:87], v[22:23]
	s_wait_dscnt 0x0
	v_mul_f64_e32 v[58:59], v[82:83], v[26:27]
	v_mul_f64_e32 v[68:69], v[86:87], v[20:21]
	;; [unrolled: 1-line block ×3, first 2 shown]
	s_mov_b32 s2, 0xe8584caa
	s_mov_b32 s3, 0xbfebb67a
	s_mov_b32 s11, 0x3febb67a
	s_wait_alu 0xfffe
	s_mov_b32 s10, s2
	v_fma_f64 v[36:37], v[88:89], v[36:37], v[40:41]
	v_fma_f64 v[28:29], v[96:97], v[28:29], v[42:43]
	v_fma_f64 v[38:39], v[88:89], v[38:39], -v[44:45]
	v_fma_f64 v[30:31], v[96:97], v[30:31], -v[46:47]
	v_fma_f64 v[32:33], v[92:93], v[32:33], v[48:49]
	v_fma_f64 v[16:17], v[100:101], v[16:17], v[50:51]
	v_fma_f64 v[34:35], v[92:93], v[34:35], -v[52:53]
	v_fma_f64 v[18:19], v[100:101], v[18:19], -v[54:55]
	;; [unrolled: 4-line block ×3, first 2 shown]
	v_add_f64_e32 v[52:53], v[12:13], v[36:37]
	v_add_f64_e32 v[40:41], v[36:37], v[28:29]
	v_add_f64_e64 v[36:37], v[36:37], -v[28:29]
	v_add_f64_e32 v[42:43], v[38:39], v[30:31]
	v_add_f64_e64 v[54:55], v[38:39], -v[30:31]
	v_add_f64_e32 v[44:45], v[32:33], v[16:17]
	v_add_f64_e32 v[38:39], v[14:15], v[38:39]
	;; [unrolled: 1-line block ×7, first 2 shown]
	v_add_f64_e64 v[34:35], v[34:35], -v[18:19]
	v_add_f64_e64 v[32:33], v[32:33], -v[16:17]
	v_add_f64_e32 v[68:69], v[8:9], v[20:21]
	v_add_f64_e32 v[70:71], v[10:11], v[22:23]
	v_add_f64_e64 v[72:73], v[22:23], -v[26:27]
	v_add_f64_e64 v[74:75], v[20:21], -v[24:25]
	v_fma_f64 v[40:41], v[40:41], -0.5, v[12:13]
	v_fma_f64 v[42:43], v[42:43], -0.5, v[14:15]
	;; [unrolled: 1-line block ×3, first 2 shown]
	v_add_f64_e32 v[4:5], v[52:53], v[28:29]
	v_fma_f64 v[46:47], v[46:47], -0.5, v[6:7]
	v_add_f64_e32 v[6:7], v[38:39], v[30:31]
	v_fma_f64 v[48:49], v[48:49], -0.5, v[8:9]
	;; [unrolled: 2-line block ×3, first 2 shown]
	v_add_f64_e32 v[10:11], v[58:59], v[18:19]
	v_add_f64_e32 v[12:13], v[68:69], v[24:25]
	;; [unrolled: 1-line block ×3, first 2 shown]
	s_wait_alu 0xfffe
	v_fma_f64 v[20:21], v[54:55], s[10:11], v[40:41]
	v_fma_f64 v[16:17], v[54:55], s[2:3], v[40:41]
	;; [unrolled: 1-line block ×12, first 2 shown]
	ds_store_b128 v160, v[4:7]
	ds_store_b128 v160, v[8:11] offset:3120
	ds_store_b128 v160, v[20:23] offset:20800
	;; [unrolled: 1-line block ×8, first 2 shown]
	s_and_saveexec_b32 s1, s0
	s_cbranch_execz .LBB0_21
; %bb.20:
	v_mul_f64_e32 v[4:5], v[66:67], v[108:109]
	v_mul_f64_e32 v[6:7], v[62:63], v[104:105]
	;; [unrolled: 1-line block ×4, first 2 shown]
	s_delay_alu instid0(VALU_DEP_4) | instskip(NEXT) | instid1(VALU_DEP_4)
	v_fma_f64 v[4:5], v[64:65], v[110:111], -v[4:5]
	v_fma_f64 v[6:7], v[60:61], v[106:107], -v[6:7]
	s_delay_alu instid0(VALU_DEP_4) | instskip(NEXT) | instid1(VALU_DEP_4)
	v_fma_f64 v[8:9], v[64:65], v[108:109], v[8:9]
	v_fma_f64 v[10:11], v[60:61], v[104:105], v[10:11]
	s_delay_alu instid0(VALU_DEP_4) | instskip(NEXT) | instid1(VALU_DEP_4)
	v_add_f64_e32 v[18:19], v[2:3], v[4:5]
	v_add_f64_e32 v[12:13], v[4:5], v[6:7]
	v_add_f64_e64 v[4:5], v[4:5], -v[6:7]
	s_delay_alu instid0(VALU_DEP_4)
	v_add_f64_e32 v[14:15], v[8:9], v[10:11]
	v_add_f64_e64 v[16:17], v[8:9], -v[10:11]
	v_add_f64_e32 v[8:9], v[0:1], v[8:9]
	v_fma_f64 v[12:13], v[12:13], -0.5, v[2:3]
	v_add_f64_e32 v[2:3], v[18:19], v[6:7]
	v_fma_f64 v[14:15], v[14:15], -0.5, v[0:1]
	s_delay_alu instid0(VALU_DEP_4) | instskip(NEXT) | instid1(VALU_DEP_4)
	v_add_f64_e32 v[0:1], v[8:9], v[10:11]
	v_fma_f64 v[10:11], v[16:17], s[10:11], v[12:13]
	v_fma_f64 v[6:7], v[16:17], s[2:3], v[12:13]
	s_delay_alu instid0(VALU_DEP_4)
	v_fma_f64 v[8:9], v[4:5], s[2:3], v[14:15]
	v_fma_f64 v[4:5], v[4:5], s[10:11], v[14:15]
	ds_store_b128 v160, v[0:3] offset:9360
	ds_store_b128 v160, v[8:11] offset:19760
	;; [unrolled: 1-line block ×3, first 2 shown]
.LBB0_21:
	s_wait_alu 0xfffe
	s_or_b32 exec_lo, exec_lo, s1
	global_wb scope:SCOPE_SE
	s_wait_dscnt 0x0
	s_barrier_signal -1
	s_barrier_wait -1
	global_inv scope:SCOPE_SE
	s_and_b32 exec_lo, exec_lo, vcc_lo
	s_cbranch_execz .LBB0_23
; %bb.22:
	s_clause 0xb
	global_load_b128 v[0:3], v255, s[8:9]
	global_load_b128 v[4:7], v255, s[8:9] offset:2400
	global_load_b128 v[8:11], v255, s[8:9] offset:4800
	global_load_b128 v[12:15], v255, s[8:9] offset:7200
	global_load_b128 v[16:19], v255, s[8:9] offset:9600
	global_load_b128 v[20:23], v255, s[8:9] offset:12000
	global_load_b128 v[24:27], v255, s[8:9] offset:14400
	global_load_b128 v[28:31], v255, s[8:9] offset:16800
	global_load_b128 v[32:35], v255, s[8:9] offset:19200
	global_load_b128 v[36:39], v255, s[8:9] offset:21600
	global_load_b128 v[40:43], v255, s[8:9] offset:24000
	global_load_b128 v[44:47], v255, s[8:9] offset:26400
	v_mad_co_u64_u32 v[88:89], null, s6, v214, 0
	v_mad_co_u64_u32 v[100:101], null, s4, v215, 0
	s_mul_u64 s[0:1], s[4:5], 0x960
	s_mov_b32 s2, 0xaa677344
	s_mov_b32 s3, 0x3f40cdd9
	s_delay_alu instid0(VALU_DEP_2) | instskip(NEXT) | instid1(VALU_DEP_2)
	v_mov_b32_e32 v48, v89
	v_mov_b32_e32 v64, v101
	s_delay_alu instid0(VALU_DEP_2)
	v_mad_co_u64_u32 v[72:73], null, s7, v214, v[48:49]
	ds_load_b128 v[48:51], v160
	ds_load_b128 v[52:55], v255 offset:2400
	ds_load_b128 v[56:59], v255 offset:4800
	;; [unrolled: 1-line block ×3, first 2 shown]
	v_mad_co_u64_u32 v[90:91], null, s5, v215, v[64:65]
	ds_load_b128 v[64:67], v255 offset:9600
	ds_load_b128 v[68:71], v255 offset:12000
	v_mov_b32_e32 v89, v72
	ds_load_b128 v[72:75], v255 offset:14400
	ds_load_b128 v[76:79], v255 offset:16800
	;; [unrolled: 1-line block ×4, first 2 shown]
	v_mov_b32_e32 v101, v90
	v_lshlrev_b64_e32 v[102:103], 4, v[88:89]
	ds_load_b128 v[88:91], v255 offset:24000
	ds_load_b128 v[92:95], v255 offset:26400
	;; [unrolled: 1-line block ×3, first 2 shown]
	v_lshlrev_b64_e32 v[100:101], 4, v[100:101]
	v_add_co_u32 v126, vcc_lo, s12, v102
	v_add_co_ci_u32_e32 v127, vcc_lo, s13, v103, vcc_lo
	s_delay_alu instid0(VALU_DEP_2) | instskip(SKIP_1) | instid1(VALU_DEP_2)
	v_add_co_u32 v100, vcc_lo, v126, v100
	s_wait_alu 0xfffd
	v_add_co_ci_u32_e32 v101, vcc_lo, v127, v101, vcc_lo
	s_wait_alu 0xfffe
	s_delay_alu instid0(VALU_DEP_2) | instskip(SKIP_1) | instid1(VALU_DEP_2)
	v_add_co_u32 v126, vcc_lo, v100, s0
	s_wait_alu 0xfffd
	v_add_co_ci_u32_e32 v127, vcc_lo, s1, v101, vcc_lo
	s_delay_alu instid0(VALU_DEP_2) | instskip(SKIP_1) | instid1(VALU_DEP_2)
	v_add_co_u32 v128, vcc_lo, v126, s0
	s_wait_alu 0xfffd
	v_add_co_ci_u32_e32 v129, vcc_lo, s1, v127, vcc_lo
	s_wait_loadcnt_dscnt 0xb0c
	v_mul_f64_e32 v[102:103], v[50:51], v[2:3]
	v_mul_f64_e32 v[2:3], v[48:49], v[2:3]
	s_wait_loadcnt_dscnt 0xa0b
	v_mul_f64_e32 v[104:105], v[54:55], v[6:7]
	v_mul_f64_e32 v[6:7], v[52:53], v[6:7]
	;; [unrolled: 3-line block ×12, first 2 shown]
	v_fma_f64 v[48:49], v[48:49], v[0:1], v[102:103]
	v_fma_f64 v[2:3], v[0:1], v[50:51], -v[2:3]
	v_fma_f64 v[50:51], v[52:53], v[4:5], v[104:105]
	v_fma_f64 v[6:7], v[4:5], v[54:55], -v[6:7]
	;; [unrolled: 2-line block ×12, first 2 shown]
	v_add_co_u32 v72, vcc_lo, v128, s0
	s_wait_alu 0xfffd
	v_add_co_ci_u32_e32 v73, vcc_lo, s1, v129, vcc_lo
	s_delay_alu instid0(VALU_DEP_2) | instskip(SKIP_1) | instid1(VALU_DEP_2)
	v_add_co_u32 v74, vcc_lo, v72, s0
	s_wait_alu 0xfffd
	v_add_co_ci_u32_e32 v75, vcc_lo, s1, v73, vcc_lo
	s_delay_alu instid0(VALU_DEP_2) | instskip(SKIP_1) | instid1(VALU_DEP_2)
	v_add_co_u32 v76, vcc_lo, v74, s0
	s_wait_alu 0xfffd
	v_add_co_ci_u32_e32 v77, vcc_lo, s1, v75, vcc_lo
	v_mul_f64_e32 v[0:1], s[2:3], v[48:49]
	v_mul_f64_e32 v[2:3], s[2:3], v[2:3]
	;; [unrolled: 1-line block ×24, first 2 shown]
	v_add_co_u32 v48, vcc_lo, v76, s0
	s_wait_alu 0xfffd
	v_add_co_ci_u32_e32 v49, vcc_lo, s1, v77, vcc_lo
	s_delay_alu instid0(VALU_DEP_2) | instskip(SKIP_1) | instid1(VALU_DEP_2)
	v_add_co_u32 v50, vcc_lo, v48, s0
	s_wait_alu 0xfffd
	v_add_co_ci_u32_e32 v51, vcc_lo, s1, v49, vcc_lo
	s_delay_alu instid0(VALU_DEP_2) | instskip(SKIP_1) | instid1(VALU_DEP_2)
	;; [unrolled: 4-line block ×5, first 2 shown]
	v_add_co_u32 v58, vcc_lo, v56, s0
	s_wait_alu 0xfffd
	v_add_co_ci_u32_e32 v59, vcc_lo, s1, v57, vcc_lo
	s_clause 0x4
	global_store_b128 v[100:101], v[0:3], off
	global_store_b128 v[126:127], v[4:7], off
	;; [unrolled: 1-line block ×12, first 2 shown]
	global_load_b128 v[0:3], v255, s[8:9] offset:28800
	s_wait_loadcnt_dscnt 0x0
	v_mul_f64_e32 v[4:5], v[98:99], v[2:3]
	v_mul_f64_e32 v[2:3], v[96:97], v[2:3]
	s_delay_alu instid0(VALU_DEP_2) | instskip(NEXT) | instid1(VALU_DEP_2)
	v_fma_f64 v[4:5], v[96:97], v[0:1], v[4:5]
	v_fma_f64 v[2:3], v[0:1], v[98:99], -v[2:3]
	s_delay_alu instid0(VALU_DEP_2) | instskip(NEXT) | instid1(VALU_DEP_2)
	v_mul_f64_e32 v[0:1], s[2:3], v[4:5]
	v_mul_f64_e32 v[2:3], s[2:3], v[2:3]
	v_add_co_u32 v4, vcc_lo, v58, s0
	s_wait_alu 0xfffd
	v_add_co_ci_u32_e32 v5, vcc_lo, s1, v59, vcc_lo
	global_store_b128 v[4:5], v[0:3], off
.LBB0_23:
	s_nop 0
	s_sendmsg sendmsg(MSG_DEALLOC_VGPRS)
	s_endpgm
	.section	.rodata,"a",@progbits
	.p2align	6, 0x0
	.amdhsa_kernel bluestein_single_fwd_len1950_dim1_dp_op_CI_CI
		.amdhsa_group_segment_fixed_size 31200
		.amdhsa_private_segment_fixed_size 88
		.amdhsa_kernarg_size 104
		.amdhsa_user_sgpr_count 2
		.amdhsa_user_sgpr_dispatch_ptr 0
		.amdhsa_user_sgpr_queue_ptr 0
		.amdhsa_user_sgpr_kernarg_segment_ptr 1
		.amdhsa_user_sgpr_dispatch_id 0
		.amdhsa_user_sgpr_private_segment_size 0
		.amdhsa_wavefront_size32 1
		.amdhsa_uses_dynamic_stack 0
		.amdhsa_enable_private_segment 1
		.amdhsa_system_sgpr_workgroup_id_x 1
		.amdhsa_system_sgpr_workgroup_id_y 0
		.amdhsa_system_sgpr_workgroup_id_z 0
		.amdhsa_system_sgpr_workgroup_info 0
		.amdhsa_system_vgpr_workitem_id 0
		.amdhsa_next_free_vgpr 256
		.amdhsa_next_free_sgpr 46
		.amdhsa_reserve_vcc 1
		.amdhsa_float_round_mode_32 0
		.amdhsa_float_round_mode_16_64 0
		.amdhsa_float_denorm_mode_32 3
		.amdhsa_float_denorm_mode_16_64 3
		.amdhsa_fp16_overflow 0
		.amdhsa_workgroup_processor_mode 1
		.amdhsa_memory_ordered 1
		.amdhsa_forward_progress 0
		.amdhsa_round_robin_scheduling 0
		.amdhsa_exception_fp_ieee_invalid_op 0
		.amdhsa_exception_fp_denorm_src 0
		.amdhsa_exception_fp_ieee_div_zero 0
		.amdhsa_exception_fp_ieee_overflow 0
		.amdhsa_exception_fp_ieee_underflow 0
		.amdhsa_exception_fp_ieee_inexact 0
		.amdhsa_exception_int_div_zero 0
	.end_amdhsa_kernel
	.text
.Lfunc_end0:
	.size	bluestein_single_fwd_len1950_dim1_dp_op_CI_CI, .Lfunc_end0-bluestein_single_fwd_len1950_dim1_dp_op_CI_CI
                                        ; -- End function
	.section	.AMDGPU.csdata,"",@progbits
; Kernel info:
; codeLenInByte = 18044
; NumSgprs: 48
; NumVgprs: 256
; ScratchSize: 88
; MemoryBound: 0
; FloatMode: 240
; IeeeMode: 1
; LDSByteSize: 31200 bytes/workgroup (compile time only)
; SGPRBlocks: 5
; VGPRBlocks: 31
; NumSGPRsForWavesPerEU: 48
; NumVGPRsForWavesPerEU: 256
; Occupancy: 5
; WaveLimiterHint : 1
; COMPUTE_PGM_RSRC2:SCRATCH_EN: 1
; COMPUTE_PGM_RSRC2:USER_SGPR: 2
; COMPUTE_PGM_RSRC2:TRAP_HANDLER: 0
; COMPUTE_PGM_RSRC2:TGID_X_EN: 1
; COMPUTE_PGM_RSRC2:TGID_Y_EN: 0
; COMPUTE_PGM_RSRC2:TGID_Z_EN: 0
; COMPUTE_PGM_RSRC2:TIDIG_COMP_CNT: 0
	.text
	.p2alignl 7, 3214868480
	.fill 96, 4, 3214868480
	.type	__hip_cuid_3af0bc4c1fb4d899,@object ; @__hip_cuid_3af0bc4c1fb4d899
	.section	.bss,"aw",@nobits
	.globl	__hip_cuid_3af0bc4c1fb4d899
__hip_cuid_3af0bc4c1fb4d899:
	.byte	0                               ; 0x0
	.size	__hip_cuid_3af0bc4c1fb4d899, 1

	.ident	"AMD clang version 19.0.0git (https://github.com/RadeonOpenCompute/llvm-project roc-6.4.0 25133 c7fe45cf4b819c5991fe208aaa96edf142730f1d)"
	.section	".note.GNU-stack","",@progbits
	.addrsig
	.addrsig_sym __hip_cuid_3af0bc4c1fb4d899
	.amdgpu_metadata
---
amdhsa.kernels:
  - .args:
      - .actual_access:  read_only
        .address_space:  global
        .offset:         0
        .size:           8
        .value_kind:     global_buffer
      - .actual_access:  read_only
        .address_space:  global
        .offset:         8
        .size:           8
        .value_kind:     global_buffer
      - .actual_access:  read_only
        .address_space:  global
        .offset:         16
        .size:           8
        .value_kind:     global_buffer
      - .actual_access:  read_only
        .address_space:  global
        .offset:         24
        .size:           8
        .value_kind:     global_buffer
      - .actual_access:  read_only
        .address_space:  global
        .offset:         32
        .size:           8
        .value_kind:     global_buffer
      - .offset:         40
        .size:           8
        .value_kind:     by_value
      - .address_space:  global
        .offset:         48
        .size:           8
        .value_kind:     global_buffer
      - .address_space:  global
        .offset:         56
        .size:           8
        .value_kind:     global_buffer
      - .address_space:  global
        .offset:         64
        .size:           8
        .value_kind:     global_buffer
      - .address_space:  global
        .offset:         72
        .size:           8
        .value_kind:     global_buffer
      - .offset:         80
        .size:           4
        .value_kind:     by_value
      - .address_space:  global
        .offset:         88
        .size:           8
        .value_kind:     global_buffer
      - .address_space:  global
        .offset:         96
        .size:           8
        .value_kind:     global_buffer
    .group_segment_fixed_size: 31200
    .kernarg_segment_align: 8
    .kernarg_segment_size: 104
    .language:       OpenCL C
    .language_version:
      - 2
      - 0
    .max_flat_workgroup_size: 195
    .name:           bluestein_single_fwd_len1950_dim1_dp_op_CI_CI
    .private_segment_fixed_size: 88
    .sgpr_count:     48
    .sgpr_spill_count: 0
    .symbol:         bluestein_single_fwd_len1950_dim1_dp_op_CI_CI.kd
    .uniform_work_group_size: 1
    .uses_dynamic_stack: false
    .vgpr_count:     256
    .vgpr_spill_count: 21
    .wavefront_size: 32
    .workgroup_processor_mode: 1
amdhsa.target:   amdgcn-amd-amdhsa--gfx1201
amdhsa.version:
  - 1
  - 2
...

	.end_amdgpu_metadata
